;; amdgpu-corpus repo=ROCm/rocFFT kind=compiled arch=gfx906 opt=O3
	.text
	.amdgcn_target "amdgcn-amd-amdhsa--gfx906"
	.amdhsa_code_object_version 6
	.protected	bluestein_single_back_len65_dim1_dp_op_CI_CI ; -- Begin function bluestein_single_back_len65_dim1_dp_op_CI_CI
	.globl	bluestein_single_back_len65_dim1_dp_op_CI_CI
	.p2align	8
	.type	bluestein_single_back_len65_dim1_dp_op_CI_CI,@function
bluestein_single_back_len65_dim1_dp_op_CI_CI: ; @bluestein_single_back_len65_dim1_dp_op_CI_CI
; %bb.0:
	v_mul_u32_u24_e32 v1, 0x13b2, v0
	s_load_dwordx4 s[0:3], s[4:5], 0x28
	v_lshrrev_b32_e32 v1, 16, v1
	v_mad_u64_u32 v[84:85], s[6:7], s6, 19, v[1:2]
	v_mov_b32_e32 v85, 0
	s_waitcnt lgkmcnt(0)
	v_cmp_gt_u64_e32 vcc, s[0:1], v[84:85]
	s_and_saveexec_b64 s[0:1], vcc
	s_cbranch_execz .LBB0_15
; %bb.1:
	s_mov_b32 s0, 0xaf286bcb
	v_mul_hi_u32 v2, v84, s0
	s_load_dwordx2 s[12:13], s[4:5], 0x0
	s_load_dwordx2 s[6:7], s[4:5], 0x38
	v_mul_lo_u16_e32 v1, 13, v1
	v_sub_u16_e32 v206, v0, v1
	v_sub_u32_e32 v3, v84, v2
	v_lshrrev_b32_e32 v3, 1, v3
	v_add_u32_e32 v2, v3, v2
	v_lshrrev_b32_e32 v2, 4, v2
	v_mul_lo_u32 v2, v2, 19
	v_cmp_gt_u16_e32 vcc, 5, v206
	v_lshlrev_b32_e32 v207, 4, v206
	v_or_b32_e32 v205, 40, v206
	v_sub_u32_e32 v0, v84, v2
	v_mul_u32_u24_e32 v208, 0x41, v0
	v_lshlrev_b32_e32 v209, 4, v208
	s_and_saveexec_b64 s[14:15], vcc
	s_cbranch_execz .LBB0_3
; %bb.2:
	s_load_dwordx2 s[0:1], s[4:5], 0x18
	v_mov_b32_e32 v70, 0xa0
	v_lshl_add_u32 v111, v206, 4, v209
	s_waitcnt lgkmcnt(0)
	s_load_dwordx4 s[8:11], s[0:1], 0x0
	s_waitcnt lgkmcnt(0)
	v_mad_u64_u32 v[0:1], s[0:1], s10, v84, 0
	v_mad_u64_u32 v[2:3], s[0:1], s8, v206, 0
	;; [unrolled: 1-line block ×4, first 2 shown]
	v_mov_b32_e32 v1, v4
	v_lshlrev_b64 v[0:1], 4, v[0:1]
	v_mov_b32_e32 v3, v5
	v_mov_b32_e32 v6, s3
	v_lshlrev_b64 v[2:3], 4, v[2:3]
	v_add_co_u32_e64 v68, s[0:1], s2, v0
	v_addc_co_u32_e64 v69, s[0:1], v6, v1, s[0:1]
	v_add_co_u32_e64 v16, s[0:1], v68, v2
	v_addc_co_u32_e64 v17, s[0:1], v69, v3, s[0:1]
	s_mul_i32 s0, s9, 0x50
	s_mul_hi_u32 s2, s8, 0x50
	s_add_i32 s2, s2, s0
	s_mul_i32 s3, s8, 0x50
	v_mov_b32_e32 v0, s2
	v_add_co_u32_e64 v18, s[0:1], s3, v16
	v_addc_co_u32_e64 v19, s[0:1], v17, v0, s[0:1]
	global_load_dwordx4 v[0:3], v[16:17], off
	global_load_dwordx4 v[4:7], v[18:19], off
	global_load_dwordx4 v[8:11], v207, s[12:13]
	global_load_dwordx4 v[12:15], v207, s[12:13] offset:80
	v_mov_b32_e32 v16, s2
	v_add_co_u32_e64 v32, s[0:1], s3, v18
	v_addc_co_u32_e64 v33, s[0:1], v19, v16, s[0:1]
	v_add_co_u32_e64 v34, s[0:1], s3, v32
	v_addc_co_u32_e64 v35, s[0:1], v33, v16, s[0:1]
	global_load_dwordx4 v[16:19], v[32:33], off
	global_load_dwordx4 v[20:23], v[34:35], off
	global_load_dwordx4 v[24:27], v207, s[12:13] offset:160
	global_load_dwordx4 v[28:31], v207, s[12:13] offset:240
	v_mov_b32_e32 v32, s2
	v_add_co_u32_e64 v36, s[0:1], s3, v34
	v_addc_co_u32_e64 v37, s[0:1], v35, v32, s[0:1]
	v_mov_b32_e32 v38, s2
	v_add_co_u32_e64 v48, s[0:1], s3, v36
	v_addc_co_u32_e64 v49, s[0:1], v37, v38, s[0:1]
	v_mad_u64_u32 v[60:61], s[0:1], s8, v205, 0
	v_mov_b32_e32 v50, s2
	v_add_co_u32_e64 v62, s[0:1], s3, v48
	v_mov_b32_e32 v52, v61
	v_addc_co_u32_e64 v63, s[0:1], v49, v50, s[0:1]
	v_mad_u64_u32 v[64:65], s[0:1], s9, v205, v[52:53]
	global_load_dwordx4 v[32:35], v[36:37], off
	s_nop 0
	global_load_dwordx4 v[36:39], v[48:49], off
	global_load_dwordx4 v[40:43], v207, s[12:13] offset:320
	global_load_dwordx4 v[44:47], v207, s[12:13] offset:400
	v_mov_b32_e32 v65, s2
	global_load_dwordx4 v[48:51], v[62:63], off
	global_load_dwordx4 v[52:55], v207, s[12:13] offset:480
	global_load_dwordx4 v[56:59], v207, s[12:13] offset:560
	v_mov_b32_e32 v61, v64
	v_add_co_u32_e64 v64, s[0:1], s3, v62
	v_addc_co_u32_e64 v65, s[0:1], v63, v65, s[0:1]
	v_lshlrev_b64 v[66:67], 4, v[60:61]
	v_mad_u64_u32 v[80:81], s[0:1], s8, v70, v[64:65]
	global_load_dwordx4 v[60:63], v[64:65], off
	v_add_co_u32_e64 v64, s[0:1], v68, v66
	v_addc_co_u32_e64 v65, s[0:1], v69, v67, s[0:1]
	s_mul_i32 s0, s9, 0xa0
	global_load_dwordx4 v[64:67], v[64:65], off
	v_add_u32_e32 v81, s0, v81
	global_load_dwordx4 v[68:71], v[80:81], off
	global_load_dwordx4 v[72:75], v207, s[12:13] offset:640
	global_load_dwordx4 v[76:79], v207, s[12:13] offset:720
	v_mov_b32_e32 v82, s2
	v_add_co_u32_e64 v85, s[0:1], s3, v80
	v_addc_co_u32_e64 v86, s[0:1], v81, v82, s[0:1]
	v_mov_b32_e32 v87, s2
	v_add_co_u32_e64 v97, s[0:1], s3, v85
	v_addc_co_u32_e64 v98, s[0:1], v86, v87, s[0:1]
	global_load_dwordx4 v[80:83], v[85:86], off
	v_mov_b32_e32 v99, s2
	v_add_co_u32_e64 v105, s[0:1], s3, v97
	global_load_dwordx4 v[85:88], v[97:98], off
	global_load_dwordx4 v[89:92], v207, s[12:13] offset:800
	global_load_dwordx4 v[93:96], v207, s[12:13] offset:880
	v_addc_co_u32_e64 v106, s[0:1], v98, v99, s[0:1]
	global_load_dwordx4 v[97:100], v[105:106], off
	global_load_dwordx4 v[101:104], v207, s[12:13] offset:960
	s_waitcnt vmcnt(23)
	v_mul_f64 v[105:106], v[2:3], v[10:11]
	s_waitcnt vmcnt(22)
	v_mul_f64 v[107:108], v[6:7], v[14:15]
	v_mul_f64 v[14:15], v[4:5], v[14:15]
	;; [unrolled: 1-line block ×3, first 2 shown]
	v_fma_f64 v[0:1], v[0:1], v[8:9], v[105:106]
	v_fma_f64 v[4:5], v[4:5], v[12:13], v[107:108]
	s_waitcnt vmcnt(19)
	v_mul_f64 v[109:110], v[18:19], v[26:27]
	v_mul_f64 v[26:27], v[16:17], v[26:27]
	v_fma_f64 v[6:7], v[6:7], v[12:13], -v[14:15]
	s_waitcnt vmcnt(18)
	v_mul_f64 v[12:13], v[22:23], v[30:31]
	v_mul_f64 v[14:15], v[20:21], v[30:31]
	v_fma_f64 v[2:3], v[2:3], v[8:9], -v[10:11]
	v_fma_f64 v[8:9], v[16:17], v[24:25], v[109:110]
	v_fma_f64 v[10:11], v[18:19], v[24:25], -v[26:27]
	v_fma_f64 v[12:13], v[20:21], v[28:29], v[12:13]
	v_fma_f64 v[14:15], v[22:23], v[28:29], -v[14:15]
	ds_write_b128 v111, v[0:3]
	s_waitcnt vmcnt(15)
	v_mul_f64 v[16:17], v[34:35], v[42:43]
	v_mul_f64 v[18:19], v[32:33], v[42:43]
	s_waitcnt vmcnt(14)
	v_mul_f64 v[24:25], v[38:39], v[46:47]
	s_waitcnt vmcnt(12)
	v_mul_f64 v[30:31], v[50:51], v[54:55]
	v_mul_f64 v[26:27], v[36:37], v[46:47]
	;; [unrolled: 1-line block ×3, first 2 shown]
	v_fma_f64 v[16:17], v[32:33], v[40:41], v[16:17]
	v_fma_f64 v[18:19], v[34:35], v[40:41], -v[18:19]
	v_fma_f64 v[20:21], v[36:37], v[44:45], v[24:25]
	v_fma_f64 v[24:25], v[48:49], v[52:53], v[30:31]
	v_add_u32_e32 v32, v209, v207
	s_waitcnt vmcnt(10)
	v_mul_f64 v[0:1], v[62:63], v[58:59]
	v_mul_f64 v[2:3], v[60:61], v[58:59]
	ds_write_b128 v32, v[4:7] offset:80
	ds_write_b128 v32, v[8:11] offset:160
	;; [unrolled: 1-line block ×4, first 2 shown]
	v_fma_f64 v[22:23], v[38:39], v[44:45], -v[26:27]
	v_fma_f64 v[26:27], v[50:51], v[52:53], -v[42:43]
	s_waitcnt vmcnt(7)
	v_mul_f64 v[28:29], v[66:67], v[74:75]
	v_mul_f64 v[30:31], v[64:65], v[74:75]
	s_waitcnt vmcnt(6)
	v_mul_f64 v[8:9], v[70:71], v[78:79]
	v_mul_f64 v[10:11], v[68:69], v[78:79]
	v_fma_f64 v[0:1], v[60:61], v[56:57], v[0:1]
	v_fma_f64 v[2:3], v[62:63], v[56:57], -v[2:3]
	v_fma_f64 v[4:5], v[64:65], v[72:73], v[28:29]
	v_fma_f64 v[6:7], v[66:67], v[72:73], -v[30:31]
	;; [unrolled: 2-line block ×3, first 2 shown]
	s_waitcnt vmcnt(3)
	v_mul_f64 v[12:13], v[82:83], v[91:92]
	v_mul_f64 v[14:15], v[80:81], v[91:92]
	s_waitcnt vmcnt(2)
	v_mul_f64 v[16:17], v[87:88], v[95:96]
	v_mul_f64 v[18:19], v[85:86], v[95:96]
	;; [unrolled: 3-line block ×3, first 2 shown]
	v_fma_f64 v[12:13], v[80:81], v[89:90], v[12:13]
	v_fma_f64 v[14:15], v[82:83], v[89:90], -v[14:15]
	v_fma_f64 v[16:17], v[85:86], v[93:94], v[16:17]
	v_fma_f64 v[18:19], v[87:88], v[93:94], -v[18:19]
	;; [unrolled: 2-line block ×3, first 2 shown]
	ds_write_b128 v32, v[20:23] offset:400
	ds_write_b128 v32, v[24:27] offset:480
	;; [unrolled: 1-line block ×8, first 2 shown]
.LBB0_3:
	s_or_b64 exec, exec, s[14:15]
	s_load_dwordx2 s[0:1], s[4:5], 0x20
	s_load_dwordx2 s[8:9], s[4:5], 0x8
	s_waitcnt lgkmcnt(0)
	s_barrier
	s_waitcnt lgkmcnt(0)
                                        ; implicit-def: $vgpr50_vgpr51
                                        ; implicit-def: $vgpr46_vgpr47
                                        ; implicit-def: $vgpr42_vgpr43
                                        ; implicit-def: $vgpr38_vgpr39
                                        ; implicit-def: $vgpr34_vgpr35
                                        ; implicit-def: $vgpr52_vgpr53
                                        ; implicit-def: $vgpr56_vgpr57
                                        ; implicit-def: $vgpr60_vgpr61
                                        ; implicit-def: $vgpr64_vgpr65
                                        ; implicit-def: $vgpr68_vgpr69
                                        ; implicit-def: $vgpr72_vgpr73
                                        ; implicit-def: $vgpr76_vgpr77
                                        ; implicit-def: $vgpr80_vgpr81
	s_and_saveexec_b64 s[2:3], vcc
	s_cbranch_execz .LBB0_5
; %bb.4:
	v_lshl_add_u32 v0, v208, 4, v207
	ds_read_b128 v[32:35], v0
	ds_read_b128 v[36:39], v0 offset:80
	ds_read_b128 v[40:43], v0 offset:160
	;; [unrolled: 1-line block ×12, first 2 shown]
.LBB0_5:
	s_or_b64 exec, exec, s[2:3]
	s_waitcnt lgkmcnt(0)
	v_add_f64 v[16:17], v[38:39], -v[82:83]
	s_mov_b32 s11, 0xbfddbe06
	s_mov_b32 s10, 0x4267c47c
	v_add_f64 v[99:100], v[36:37], v[80:81]
	v_add_f64 v[18:19], v[42:43], -v[78:79]
	v_add_f64 v[20:21], v[36:37], -v[80:81]
	s_mov_b32 s2, 0xe00740e9
	s_mov_b32 s24, 0x42a4c3d2
	v_mul_f64 v[85:86], v[16:17], s[10:11]
	s_mov_b32 s3, 0x3fec55a7
	s_mov_b32 s25, 0xbfea55e2
	v_add_f64 v[109:110], v[40:41], v[76:77]
	v_add_f64 v[111:112], v[38:39], v[82:83]
	v_add_f64 v[22:23], v[40:41], -v[76:77]
	v_mul_f64 v[87:88], v[18:19], s[24:25]
	v_mul_f64 v[89:90], v[20:21], s[10:11]
	v_fma_f64 v[0:1], v[99:100], s[2:3], v[85:86]
	v_add_f64 v[24:25], v[46:47], -v[74:75]
	s_mov_b32 s4, 0x1ea71119
	s_mov_b32 s28, 0x66966769
	;; [unrolled: 1-line block ×4, first 2 shown]
	v_add_f64 v[113:114], v[42:43], v[78:79]
	v_mul_f64 v[93:94], v[22:23], s[24:25]
	v_fma_f64 v[2:3], v[109:110], s[4:5], v[87:88]
	v_fma_f64 v[4:5], v[111:112], s[2:3], -v[89:90]
	v_add_f64 v[0:1], v[32:33], v[0:1]
	v_add_f64 v[121:122], v[44:45], v[72:73]
	v_mul_f64 v[91:92], v[24:25], s[28:29]
	v_add_f64 v[28:29], v[50:51], -v[70:71]
	s_mov_b32 s14, 0xebaa3ed8
	s_mov_b32 s20, 0x2ef20147
	;; [unrolled: 1-line block ×4, first 2 shown]
	v_add_f64 v[26:27], v[44:45], -v[72:73]
	v_fma_f64 v[6:7], v[113:114], s[4:5], -v[93:94]
	v_add_f64 v[4:5], v[34:35], v[4:5]
	v_add_f64 v[0:1], v[2:3], v[0:1]
	v_fma_f64 v[2:3], v[121:122], s[14:15], v[91:92]
	v_add_f64 v[127:128], v[48:49], v[68:69]
	v_mul_f64 v[95:96], v[28:29], s[20:21]
	v_add_f64 v[210:211], v[54:55], -v[66:67]
	s_mov_b32 s18, 0xb2365da1
	s_mov_b32 s26, 0x24c2f84
	;; [unrolled: 1-line block ×4, first 2 shown]
	v_add_f64 v[139:140], v[46:47], v[74:75]
	v_mul_f64 v[97:98], v[26:27], s[28:29]
	v_add_f64 v[4:5], v[6:7], v[4:5]
	v_add_f64 v[30:31], v[48:49], -v[68:69]
	v_add_f64 v[0:1], v[2:3], v[0:1]
	v_fma_f64 v[6:7], v[127:128], s[18:19], v[95:96]
	v_add_f64 v[141:142], v[52:53], v[64:65]
	v_mul_f64 v[101:102], v[210:211], s[26:27]
	s_mov_b32 s16, 0xd0032e0c
	s_mov_b32 s17, 0xbfe7f3cc
	v_fma_f64 v[2:3], v[139:140], s[14:15], -v[97:98]
	v_add_f64 v[147:148], v[50:51], v[70:71]
	v_mul_f64 v[103:104], v[30:31], s[20:21]
	v_add_f64 v[212:213], v[52:53], -v[64:65]
	v_add_f64 v[0:1], v[6:7], v[0:1]
	v_fma_f64 v[6:7], v[141:142], s[16:17], v[101:102]
	v_mul_f64 v[117:118], v[16:17], s[24:25]
	v_mul_f64 v[151:152], v[20:21], s[24:25]
	v_add_f64 v[2:3], v[2:3], v[4:5]
	v_add_f64 v[149:150], v[54:55], v[66:67]
	v_fma_f64 v[4:5], v[147:148], s[18:19], -v[103:104]
	v_mul_f64 v[105:106], v[212:213], s[26:27]
	v_add_f64 v[214:215], v[58:59], -v[62:63]
	v_add_f64 v[0:1], v[6:7], v[0:1]
	v_fma_f64 v[6:7], v[99:100], s[4:5], v[117:118]
	v_mul_f64 v[119:120], v[18:19], s[20:21]
	v_fma_f64 v[8:9], v[111:112], s[4:5], -v[151:152]
	v_mul_f64 v[129:130], v[22:23], s[20:21]
	v_add_f64 v[216:217], v[56:57], -v[60:61]
	s_mov_b32 s34, 0x4bc48dbf
	s_mov_b32 s35, 0xbfcea1e5
	v_add_f64 v[2:3], v[4:5], v[2:3]
	v_fma_f64 v[4:5], v[149:150], s[16:17], -v[105:106]
	v_add_f64 v[165:166], v[56:57], v[60:61]
	v_mul_f64 v[107:108], v[214:215], s[34:35]
	v_add_f64 v[6:7], v[32:33], v[6:7]
	v_fma_f64 v[10:11], v[109:110], s[18:19], v[119:120]
	v_add_f64 v[8:9], v[34:35], v[8:9]
	v_fma_f64 v[12:13], v[113:114], s[18:19], -v[129:130]
	v_mul_f64 v[123:124], v[24:25], s[34:35]
	v_mul_f64 v[133:134], v[26:27], s[34:35]
	v_add_f64 v[169:170], v[58:59], v[62:63]
	v_mul_f64 v[115:116], v[216:217], s[34:35]
	s_mov_b32 s22, 0x93053d00
	s_mov_b32 s23, 0xbfef11f4
	;; [unrolled: 1-line block ×4, first 2 shown]
	v_fma_f64 v[14:15], v[165:166], s[22:23], v[107:108]
	v_add_f64 v[6:7], v[10:11], v[6:7]
	v_add_f64 v[8:9], v[12:13], v[8:9]
	v_fma_f64 v[10:11], v[121:122], s[22:23], v[123:124]
	v_fma_f64 v[12:13], v[139:140], s[22:23], -v[133:134]
	v_mul_f64 v[125:126], v[28:29], s[36:37]
	v_mul_f64 v[135:136], v[30:31], s[36:37]
	v_add_f64 v[2:3], v[4:5], v[2:3]
	v_fma_f64 v[4:5], v[169:170], s[22:23], -v[115:116]
	v_mul_f64 v[145:146], v[16:17], s[28:29]
	v_mul_f64 v[177:178], v[20:21], s[28:29]
	s_mov_b32 s31, 0x3fefc445
	s_mov_b32 s30, s28
	v_add_f64 v[0:1], v[14:15], v[0:1]
	v_add_f64 v[6:7], v[10:11], v[6:7]
	;; [unrolled: 1-line block ×3, first 2 shown]
	v_fma_f64 v[10:11], v[127:128], s[16:17], v[125:126]
	v_fma_f64 v[12:13], v[147:148], s[16:17], -v[135:136]
	v_mul_f64 v[131:132], v[210:211], s[30:31]
	v_add_f64 v[2:3], v[4:5], v[2:3]
	v_mul_f64 v[143:144], v[212:213], s[30:31]
	v_fma_f64 v[4:5], v[99:100], s[14:15], v[145:146]
	v_mul_f64 v[153:154], v[18:19], s[34:35]
	v_fma_f64 v[14:15], v[111:112], s[14:15], -v[177:178]
	v_mul_f64 v[179:180], v[22:23], s[34:35]
	s_mov_b32 s39, 0x3fedeba7
	s_mov_b32 s38, s20
	v_add_f64 v[6:7], v[10:11], v[6:7]
	v_add_f64 v[8:9], v[12:13], v[8:9]
	v_fma_f64 v[10:11], v[141:142], s[14:15], v[131:132]
	v_fma_f64 v[12:13], v[149:150], s[14:15], -v[143:144]
	v_add_f64 v[4:5], v[32:33], v[4:5]
	v_fma_f64 v[157:158], v[109:110], s[22:23], v[153:154]
	v_add_f64 v[14:15], v[34:35], v[14:15]
	v_mul_f64 v[155:156], v[24:25], s[38:39]
	v_fma_f64 v[159:160], v[113:114], s[22:23], -v[179:180]
	v_mul_f64 v[161:162], v[26:27], s[38:39]
	s_mov_b32 s11, 0x3fddbe06
	v_add_f64 v[6:7], v[10:11], v[6:7]
	v_mul_f64 v[137:138], v[214:215], s[10:11]
	v_add_f64 v[8:9], v[12:13], v[8:9]
	v_add_f64 v[4:5], v[157:158], v[4:5]
	v_fma_f64 v[10:11], v[121:122], s[18:19], v[155:156]
	v_add_f64 v[12:13], v[159:160], v[14:15]
	v_fma_f64 v[14:15], v[139:140], s[18:19], -v[161:162]
	v_mul_f64 v[159:160], v[28:29], s[10:11]
	v_mul_f64 v[183:184], v[16:17], s[20:21]
	;; [unrolled: 1-line block ×4, first 2 shown]
	v_fma_f64 v[167:168], v[165:166], s[2:3], v[137:138]
	v_add_f64 v[10:11], v[10:11], v[4:5]
	v_mul_f64 v[185:186], v[18:19], s[36:37]
	v_add_f64 v[12:13], v[14:15], v[12:13]
	v_fma_f64 v[14:15], v[127:128], s[2:3], v[159:160]
	v_fma_f64 v[175:176], v[99:100], s[18:19], v[183:184]
	v_fma_f64 v[181:182], v[111:112], s[18:19], -v[199:200]
	v_mul_f64 v[197:198], v[22:23], s[36:37]
	v_fma_f64 v[171:172], v[147:148], s[2:3], -v[163:164]
	v_add_f64 v[4:5], v[167:168], v[6:7]
	v_mul_f64 v[167:168], v[210:211], s[24:25]
	v_mul_f64 v[173:174], v[212:213], s[24:25]
	v_add_f64 v[10:11], v[14:15], v[10:11]
	v_add_f64 v[14:15], v[32:33], v[175:176]
	v_fma_f64 v[189:190], v[109:110], s[16:17], v[185:186]
	v_add_f64 v[181:182], v[34:35], v[181:182]
	v_fma_f64 v[191:192], v[113:114], s[16:17], -v[197:198]
	v_mul_f64 v[187:188], v[24:25], s[10:11]
	v_mul_f64 v[201:202], v[26:27], s[10:11]
	;; [unrolled: 1-line block ×3, first 2 shown]
	v_add_f64 v[12:13], v[171:172], v[12:13]
	v_fma_f64 v[195:196], v[141:142], s[4:5], v[167:168]
	v_fma_f64 v[203:204], v[149:150], s[4:5], -v[173:174]
	v_mul_f64 v[171:172], v[214:215], s[26:27]
	v_mul_f64 v[175:176], v[216:217], s[26:27]
	v_add_f64 v[14:15], v[189:190], v[14:15]
	v_add_f64 v[181:182], v[191:192], v[181:182]
	v_fma_f64 v[191:192], v[121:122], s[2:3], v[187:188]
	v_fma_f64 v[218:219], v[139:140], s[2:3], -v[201:202]
	v_mul_f64 v[189:190], v[28:29], s[28:29]
	v_fma_f64 v[6:7], v[169:170], s[2:3], -v[157:158]
	v_mul_f64 v[193:194], v[30:31], s[28:29]
	v_add_f64 v[10:11], v[195:196], v[10:11]
	v_add_f64 v[12:13], v[203:204], v[12:13]
	v_fma_f64 v[203:204], v[165:166], s[16:17], v[171:172]
	v_fma_f64 v[220:221], v[169:170], s[16:17], -v[175:176]
	v_add_f64 v[14:15], v[191:192], v[14:15]
	v_add_f64 v[191:192], v[218:219], v[181:182]
	v_fma_f64 v[218:219], v[127:128], s[14:15], v[189:190]
	v_fma_f64 v[222:223], v[147:148], s[14:15], -v[193:194]
	v_add_f64 v[6:7], v[6:7], v[8:9]
	v_mul_f64 v[224:225], v[16:17], s[26:27]
	v_add_f64 v[8:9], v[203:204], v[10:11]
	v_add_f64 v[10:11], v[220:221], v[12:13]
	s_mov_b32 s37, 0x3fcea1e5
	s_mov_b32 s36, s34
	v_add_f64 v[12:13], v[218:219], v[14:15]
	v_mul_f64 v[218:219], v[20:21], s[26:27]
	v_mul_f64 v[181:182], v[210:211], s[36:37]
	;; [unrolled: 1-line block ×3, first 2 shown]
	v_add_f64 v[14:15], v[222:223], v[191:192]
	v_fma_f64 v[222:223], v[99:100], s[16:17], -v[224:225]
	v_mul_f64 v[226:227], v[18:19], s[30:31]
	v_mul_f64 v[230:231], v[22:23], s[30:31]
	v_fma_f64 v[224:225], v[99:100], s[16:17], v[224:225]
	v_fma_f64 v[228:229], v[111:112], s[16:17], v[218:219]
	v_fma_f64 v[218:219], v[111:112], s[16:17], -v[218:219]
	s_mov_b32 s29, 0x3fea55e2
	s_mov_b32 s28, s24
	v_fma_f64 v[203:204], v[141:142], s[22:23], v[181:182]
	v_fma_f64 v[220:221], v[149:150], s[22:23], -v[195:196]
	v_mul_f64 v[191:192], v[214:215], s[28:29]
	v_fma_f64 v[232:233], v[109:110], s[14:15], -v[226:227]
	v_mul_f64 v[234:235], v[24:25], s[24:25]
	v_add_f64 v[228:229], v[34:35], v[228:229]
	v_fma_f64 v[236:237], v[113:114], s[14:15], v[230:231]
	v_mul_f64 v[238:239], v[26:27], s[24:25]
	v_add_f64 v[224:225], v[32:33], v[224:225]
	v_fma_f64 v[226:227], v[109:110], s[14:15], v[226:227]
	v_add_f64 v[218:219], v[34:35], v[218:219]
	v_fma_f64 v[230:231], v[113:114], s[14:15], -v[230:231]
	v_add_f64 v[12:13], v[203:204], v[12:13]
	v_add_f64 v[222:223], v[32:33], v[222:223]
	;; [unrolled: 1-line block ×3, first 2 shown]
	v_fma_f64 v[220:221], v[165:166], s[4:5], v[191:192]
	v_mul_f64 v[240:241], v[28:29], s[36:37]
	v_add_f64 v[228:229], v[236:237], v[228:229]
	v_fma_f64 v[236:237], v[139:140], s[4:5], v[238:239]
	v_mul_f64 v[244:245], v[30:31], s[36:37]
	v_add_f64 v[224:225], v[226:227], v[224:225]
	v_fma_f64 v[226:227], v[121:122], s[4:5], v[234:235]
	v_add_f64 v[218:219], v[230:231], v[218:219]
	v_fma_f64 v[230:231], v[139:140], s[4:5], -v[238:239]
	v_add_f64 v[222:223], v[232:233], v[222:223]
	v_fma_f64 v[232:233], v[121:122], s[4:5], -v[234:235]
	v_add_f64 v[228:229], v[236:237], v[228:229]
	v_fma_f64 v[236:237], v[147:148], s[22:23], v[244:245]
	v_mul_f64 v[246:247], v[210:211], s[10:11]
	v_mul_f64 v[248:249], v[212:213], s[10:11]
	v_add_f64 v[12:13], v[220:221], v[12:13]
	v_add_f64 v[220:221], v[226:227], v[224:225]
	v_fma_f64 v[224:225], v[127:128], s[22:23], v[240:241]
	v_add_f64 v[218:219], v[230:231], v[218:219]
	v_fma_f64 v[226:227], v[147:148], s[22:23], -v[244:245]
	v_mul_f64 v[16:17], v[16:17], s[34:35]
	v_mul_f64 v[20:21], v[20:21], s[34:35]
	v_add_f64 v[222:223], v[232:233], v[222:223]
	v_fma_f64 v[232:233], v[127:128], s[22:23], -v[240:241]
	v_add_f64 v[228:229], v[236:237], v[228:229]
	v_add_f64 v[220:221], v[224:225], v[220:221]
	v_fma_f64 v[224:225], v[141:142], s[2:3], v[246:247]
	v_add_f64 v[218:219], v[226:227], v[218:219]
	v_fma_f64 v[226:227], v[149:150], s[2:3], -v[248:249]
	v_fma_f64 v[236:237], v[99:100], s[22:23], -v[16:17]
	v_mul_f64 v[18:19], v[18:19], s[10:11]
	v_fma_f64 v[240:241], v[111:112], s[22:23], v[20:21]
	v_mul_f64 v[22:23], v[22:23], s[10:11]
	v_fma_f64 v[16:17], v[99:100], s[22:23], v[16:17]
	v_fma_f64 v[20:21], v[111:112], s[22:23], -v[20:21]
	v_add_f64 v[220:221], v[224:225], v[220:221]
	v_add_f64 v[218:219], v[226:227], v[218:219]
	v_add_f64 v[224:225], v[32:33], v[236:237]
	v_fma_f64 v[226:227], v[109:110], s[2:3], -v[18:19]
	v_add_f64 v[236:237], v[34:35], v[240:241]
	v_fma_f64 v[240:241], v[113:114], s[2:3], v[22:23]
	v_mul_f64 v[24:25], v[24:25], s[26:27]
	v_mul_f64 v[26:27], v[26:27], s[26:27]
	v_add_f64 v[16:17], v[32:33], v[16:17]
	v_fma_f64 v[18:19], v[109:110], s[2:3], v[18:19]
	v_add_f64 v[20:21], v[34:35], v[20:21]
	v_fma_f64 v[22:23], v[113:114], s[2:3], -v[22:23]
	v_add_f64 v[224:225], v[226:227], v[224:225]
	v_add_f64 v[226:227], v[240:241], v[236:237]
	v_fma_f64 v[236:237], v[121:122], s[16:17], -v[24:25]
	v_fma_f64 v[240:241], v[139:140], s[16:17], v[26:27]
	v_mul_f64 v[28:29], v[28:29], s[28:29]
	v_mul_f64 v[30:31], v[30:31], s[28:29]
	v_add_f64 v[16:17], v[18:19], v[16:17]
	v_add_f64 v[18:19], v[22:23], v[20:21]
	v_fma_f64 v[20:21], v[121:122], s[16:17], v[24:25]
	v_fma_f64 v[22:23], v[139:140], s[16:17], -v[26:27]
	v_add_f64 v[222:223], v[232:233], v[222:223]
	v_fma_f64 v[232:233], v[141:142], s[2:3], -v[246:247]
	v_add_f64 v[24:25], v[236:237], v[224:225]
	v_add_f64 v[26:27], v[240:241], v[226:227]
	v_fma_f64 v[224:225], v[127:128], s[4:5], -v[28:29]
	v_fma_f64 v[226:227], v[147:148], s[4:5], v[30:31]
	v_mul_f64 v[210:211], v[210:211], s[20:21]
	v_mul_f64 v[212:213], v[212:213], s[20:21]
	v_add_f64 v[16:17], v[20:21], v[16:17]
	v_add_f64 v[18:19], v[22:23], v[18:19]
	v_fma_f64 v[20:21], v[127:128], s[4:5], v[28:29]
	v_fma_f64 v[22:23], v[147:148], s[4:5], -v[30:31]
	v_mul_f64 v[203:204], v[216:217], s[28:29]
	v_fma_f64 v[234:235], v[149:150], s[2:3], v[248:249]
	v_add_f64 v[222:223], v[232:233], v[222:223]
	v_mul_f64 v[230:231], v[214:215], s[20:21]
	v_mul_f64 v[232:233], v[216:217], s[20:21]
	v_add_f64 v[24:25], v[224:225], v[24:25]
	v_add_f64 v[26:27], v[226:227], v[26:27]
	v_fma_f64 v[28:29], v[141:142], s[18:19], -v[210:211]
	v_fma_f64 v[30:31], v[149:150], s[18:19], v[212:213]
	v_mul_f64 v[214:215], v[214:215], s[30:31]
	v_mul_f64 v[216:217], v[216:217], s[30:31]
	v_add_f64 v[16:17], v[20:21], v[16:17]
	v_add_f64 v[18:19], v[22:23], v[18:19]
	v_fma_f64 v[20:21], v[141:142], s[18:19], v[210:211]
	v_fma_f64 v[22:23], v[149:150], s[18:19], -v[212:213]
	v_fma_f64 v[242:243], v[169:170], s[4:5], -v[203:204]
	v_add_f64 v[228:229], v[234:235], v[228:229]
	v_fma_f64 v[234:235], v[165:166], s[18:19], -v[230:231]
	v_fma_f64 v[238:239], v[169:170], s[18:19], v[232:233]
	v_fma_f64 v[210:211], v[165:166], s[18:19], v[230:231]
	v_fma_f64 v[212:213], v[169:170], s[18:19], -v[232:233]
	v_add_f64 v[28:29], v[28:29], v[24:25]
	v_add_f64 v[30:31], v[30:31], v[26:27]
	v_fma_f64 v[224:225], v[165:166], s[14:15], -v[214:215]
	v_fma_f64 v[226:227], v[169:170], s[14:15], v[216:217]
	v_add_f64 v[230:231], v[20:21], v[16:17]
	v_add_f64 v[232:233], v[22:23], v[18:19]
	v_fma_f64 v[214:215], v[165:166], s[14:15], v[214:215]
	v_fma_f64 v[216:217], v[169:170], s[14:15], -v[216:217]
	v_add_f64 v[14:15], v[242:243], v[14:15]
	v_add_f64 v[16:17], v[234:235], v[222:223]
	;; [unrolled: 1-line block ×9, first 2 shown]
	v_mul_lo_u16_e32 v210, 13, v206
	s_barrier
	s_and_saveexec_b64 s[10:11], vcc
	s_cbranch_execz .LBB0_7
; %bb.6:
	v_mul_f64 v[213:214], v[111:112], s[2:3]
	v_mul_f64 v[217:218], v[111:112], s[4:5]
	v_mul_f64 v[221:222], v[111:112], s[14:15]
	v_mul_f64 v[111:112], v[111:112], s[18:19]
	v_mul_f64 v[225:226], v[113:114], s[4:5]
	v_mul_f64 v[229:230], v[113:114], s[18:19]
	v_mul_f64 v[233:234], v[113:114], s[22:23]
	v_mul_f64 v[113:114], v[113:114], s[16:17]
	v_mul_f64 v[211:212], v[99:100], s[2:3]
	v_mul_f64 v[215:216], v[99:100], s[4:5]
	v_mul_f64 v[219:220], v[99:100], s[14:15]
	v_add_f64 v[111:112], v[199:200], v[111:112]
	v_mul_f64 v[99:100], v[99:100], s[18:19]
	v_mul_f64 v[243:244], v[139:140], s[2:3]
	;; [unrolled: 1-line block ×3, first 2 shown]
	v_add_f64 v[113:114], v[197:198], v[113:114]
	v_mul_f64 v[227:228], v[109:110], s[18:19]
	v_mul_f64 v[231:232], v[109:110], s[22:23]
	;; [unrolled: 1-line block ×3, first 2 shown]
	v_add_f64 v[111:112], v[34:35], v[111:112]
	v_mul_f64 v[245:246], v[147:148], s[14:15]
	v_add_f64 v[201:202], v[201:202], v[243:244]
	v_add_f64 v[99:100], v[99:100], -v[183:184]
	v_mul_f64 v[235:236], v[121:122], s[14:15]
	v_mul_f64 v[199:200], v[121:122], s[22:23]
	;; [unrolled: 1-line block ×4, first 2 shown]
	v_add_f64 v[111:112], v[113:114], v[111:112]
	v_add_f64 v[193:194], v[193:194], v[245:246]
	v_mul_f64 v[245:246], v[149:150], s[22:23]
	v_add_f64 v[109:110], v[109:110], -v[185:186]
	v_add_f64 v[99:100], v[32:33], v[99:100]
	v_mul_f64 v[197:198], v[127:128], s[18:19]
	v_mul_f64 v[243:244], v[127:128], s[16:17]
	;; [unrolled: 1-line block ×3, first 2 shown]
	v_add_f64 v[111:112], v[201:202], v[111:112]
	v_mul_f64 v[127:128], v[127:128], s[14:15]
	v_add_f64 v[195:196], v[195:196], v[245:246]
	v_mul_f64 v[245:246], v[169:170], s[4:5]
	v_add_f64 v[121:122], v[121:122], -v[187:188]
	v_add_f64 v[99:100], v[109:110], v[99:100]
	v_mul_f64 v[185:186], v[141:142], s[16:17]
	v_mul_f64 v[187:188], v[141:142], s[14:15]
	v_add_f64 v[111:112], v[193:194], v[111:112]
	v_mul_f64 v[193:194], v[141:142], s[4:5]
	v_mul_f64 v[141:142], v[141:142], s[22:23]
	v_add_f64 v[203:204], v[203:204], v[245:246]
	v_add_f64 v[127:128], v[127:128], -v[189:190]
	v_add_f64 v[99:100], v[121:122], v[99:100]
	v_add_f64 v[177:178], v[177:178], v[221:222]
	;; [unrolled: 1-line block ×5, first 2 shown]
	v_mul_f64 v[237:238], v[139:140], s[14:15]
	v_mul_f64 v[239:240], v[139:140], s[22:23]
	;; [unrolled: 1-line block ×3, first 2 shown]
	v_add_f64 v[141:142], v[141:142], -v[181:182]
	v_add_f64 v[127:128], v[127:128], v[99:100]
	v_add_f64 v[177:178], v[34:35], v[177:178]
	;; [unrolled: 1-line block ×7, first 2 shown]
	v_mul_f64 v[247:248], v[147:148], s[18:19]
	v_mul_f64 v[183:184], v[147:148], s[16:17]
	;; [unrolled: 1-line block ×3, first 2 shown]
	v_add_f64 v[127:128], v[141:142], v[127:128]
	v_add_f64 v[139:140], v[161:162], v[139:140]
	v_add_f64 v[141:142], v[219:220], -v[145:146]
	v_add_f64 v[111:112], v[111:112], v[177:178]
	v_add_f64 v[129:130], v[129:130], v[229:230]
	;; [unrolled: 1-line block ×5, first 2 shown]
	v_mul_f64 v[201:202], v[149:150], s[16:17]
	v_mul_f64 v[109:110], v[149:150], s[14:15]
	;; [unrolled: 1-line block ×3, first 2 shown]
	v_add_f64 v[40:41], v[163:164], v[147:148]
	v_add_f64 v[42:43], v[231:232], -v[153:154]
	v_add_f64 v[141:142], v[32:33], v[141:142]
	v_add_f64 v[111:112], v[139:140], v[111:112]
	v_add_f64 v[133:134], v[133:134], v[239:240]
	v_add_f64 v[129:130], v[129:130], v[145:146]
	v_add_f64 v[38:39], v[50:51], v[38:39]
	v_add_f64 v[36:37], v[48:49], v[36:37]
	v_add_f64 v[44:45], v[173:174], v[149:150]
	v_add_f64 v[46:47], v[241:242], -v[155:156]
	v_add_f64 v[42:43], v[42:43], v[141:142]
	v_add_f64 v[40:41], v[40:41], v[111:112]
	v_add_f64 v[111:112], v[135:136], v[183:184]
	v_add_f64 v[129:130], v[133:134], v[129:130]
	v_add_f64 v[38:39], v[54:55], v[38:39]
	v_add_f64 v[36:37], v[52:53], v[36:37]
	v_add_f64 v[89:90], v[89:90], v[213:214]
	v_add_f64 v[87:88], v[223:224], -v[87:88]
	v_add_f64 v[42:43], v[46:47], v[42:43]
	v_add_f64 v[40:41], v[44:45], v[40:41]
	v_add_f64 v[44:45], v[143:144], v[109:110]
	v_add_f64 v[46:47], v[111:112], v[129:130]
	v_add_f64 v[38:39], v[38:39], v[58:59]
	v_add_f64 v[36:37], v[56:57], v[36:37]
	v_add_f64 v[56:57], v[215:216], -v[117:118]
	v_add_f64 v[34:35], v[34:35], v[89:90]
	v_add_f64 v[58:59], v[227:228], -v[119:120]
	v_add_f64 v[50:51], v[113:114], -v[159:160]
	v_mul_f64 v[195:196], v[169:170], s[2:3]
	v_add_f64 v[44:45], v[44:45], v[46:47]
	v_add_f64 v[46:47], v[211:212], -v[85:86]
	v_add_f64 v[38:39], v[38:39], v[62:63]
	v_add_f64 v[36:37], v[60:61], v[36:37]
	;; [unrolled: 1-line block ×4, first 2 shown]
	v_add_f64 v[62:63], v[235:236], -v[91:92]
	v_mul_f64 v[245:246], v[165:166], s[22:23]
	v_mul_f64 v[189:190], v[169:170], s[22:23]
	v_add_f64 v[46:47], v[32:33], v[46:47]
	v_add_f64 v[32:33], v[32:33], v[56:57]
	;; [unrolled: 1-line block ×5, first 2 shown]
	v_add_f64 v[56:57], v[199:200], -v[123:124]
	v_add_f64 v[64:65], v[103:104], v[247:248]
	v_mul_f64 v[169:170], v[169:170], s[16:17]
	v_add_f64 v[46:47], v[87:88], v[46:47]
	v_add_f64 v[32:33], v[58:59], v[32:33]
	v_add_f64 v[38:39], v[38:39], v[70:71]
	v_add_f64 v[36:37], v[36:37], v[68:69]
	v_add_f64 v[34:35], v[60:61], v[34:35]
	v_add_f64 v[60:61], v[197:198], -v[95:96]
	v_add_f64 v[58:59], v[243:244], -v[125:126]
	v_mul_f64 v[121:122], v[165:166], s[2:3]
	v_add_f64 v[46:47], v[62:63], v[46:47]
	v_add_f64 v[32:33], v[56:57], v[32:33]
	;; [unrolled: 1-line block ×6, first 2 shown]
	v_add_f64 v[64:65], v[185:186], -v[101:102]
	v_add_f64 v[56:57], v[187:188], -v[131:132]
	v_add_f64 v[46:47], v[60:61], v[46:47]
	v_add_f64 v[32:33], v[58:59], v[32:33]
	v_mul_f64 v[221:222], v[165:166], s[4:5]
	v_mul_f64 v[165:166], v[165:166], s[16:17]
	v_add_f64 v[54:55], v[193:194], -v[167:168]
	v_add_f64 v[42:43], v[50:51], v[42:43]
	v_add_f64 v[50:51], v[157:158], v[195:196]
	;; [unrolled: 1-line block ×7, first 2 shown]
	v_add_f64 v[66:67], v[245:246], -v[107:108]
	v_add_f64 v[64:65], v[64:65], v[46:47]
	v_add_f64 v[58:59], v[121:122], -v[137:138]
	v_add_f64 v[32:33], v[56:57], v[32:33]
	;; [unrolled: 2-line block ×4, first 2 shown]
	v_add_f64 v[46:47], v[68:69], v[82:83]
	v_add_f64 v[44:45], v[36:37], v[80:81]
	v_add_f64 v[34:35], v[48:49], v[40:41]
	v_add_f64 v[42:43], v[60:61], v[62:63]
	v_add_f64 v[40:41], v[66:67], v[64:65]
	v_add_f64 v[36:37], v[58:59], v[32:33]
	v_add_f64 v[32:33], v[52:53], v[54:55]
	v_add_f64 v[97:98], v[179:180], v[127:128]
	v_add_lshl_u32 v48, v208, v210, 4
	ds_write_b128 v48, v[44:47]
	ds_write_b128 v48, v[40:43] offset:16
	ds_write_b128 v48, v[36:39] offset:32
	;; [unrolled: 1-line block ×12, first 2 shown]
.LBB0_7:
	s_or_b64 exec, exec, s[10:11]
	v_lshlrev_b32_e32 v48, 6, v206
	s_load_dwordx4 s[0:3], s[0:1], 0x0
	s_waitcnt lgkmcnt(0)
	s_barrier
	global_load_dwordx4 v[44:47], v48, s[8:9]
	global_load_dwordx4 v[40:43], v48, s[8:9] offset:16
	global_load_dwordx4 v[36:39], v48, s[8:9] offset:32
	;; [unrolled: 1-line block ×3, first 2 shown]
	v_add_lshl_u32 v130, v208, v206, 4
	ds_read_b128 v[48:51], v130
	ds_read_b128 v[52:55], v130 offset:208
	ds_read_b128 v[56:59], v130 offset:416
	;; [unrolled: 1-line block ×4, first 2 shown]
	s_mov_b32 s10, 0x134454ff
	s_mov_b32 s11, 0x3fee6f0e
	s_mov_b32 s15, 0xbfee6f0e
	s_mov_b32 s14, s10
	s_mov_b32 s4, 0x4755a5e
	s_mov_b32 s5, 0x3fe2cf23
	s_mov_b32 s17, 0xbfe2cf23
	s_mov_b32 s16, s4
	s_mov_b32 s8, 0x372fe950
	s_mov_b32 s9, 0x3fd3c6ef
	v_lshl_add_u32 v129, v206, 4, v209
	s_waitcnt vmcnt(3) lgkmcnt(3)
	v_mul_f64 v[68:69], v[54:55], v[46:47]
	v_mul_f64 v[70:71], v[52:53], v[46:47]
	s_waitcnt vmcnt(2) lgkmcnt(2)
	v_mul_f64 v[72:73], v[58:59], v[42:43]
	v_mul_f64 v[74:75], v[56:57], v[42:43]
	s_waitcnt vmcnt(1) lgkmcnt(1)
	v_mul_f64 v[76:77], v[62:63], v[38:39]
	s_waitcnt vmcnt(0) lgkmcnt(0)
	v_mul_f64 v[78:79], v[64:65], v[34:35]
	v_mul_f64 v[80:81], v[60:61], v[38:39]
	;; [unrolled: 1-line block ×3, first 2 shown]
	v_fma_f64 v[52:53], v[52:53], v[44:45], -v[68:69]
	v_fma_f64 v[54:55], v[54:55], v[44:45], v[70:71]
	v_fma_f64 v[56:57], v[56:57], v[40:41], -v[72:73]
	v_fma_f64 v[58:59], v[58:59], v[40:41], v[74:75]
	;; [unrolled: 2-line block ×3, first 2 shown]
	v_fma_f64 v[62:63], v[62:63], v[36:37], v[80:81]
	v_fma_f64 v[64:65], v[64:65], v[32:33], -v[82:83]
	v_add_f64 v[68:69], v[48:49], v[52:53]
	v_add_f64 v[87:88], v[50:51], v[54:55]
	v_add_f64 v[76:77], v[52:53], -v[56:57]
	v_add_f64 v[82:83], v[56:57], -v[52:53]
	v_add_f64 v[70:71], v[56:57], v[60:61]
	v_add_f64 v[97:98], v[54:55], v[66:67]
	;; [unrolled: 1-line block ×3, first 2 shown]
	v_add_f64 v[78:79], v[64:65], -v[60:61]
	v_add_f64 v[80:81], v[52:53], v[64:65]
	v_add_f64 v[72:73], v[54:55], -v[66:67]
	v_add_f64 v[74:75], v[58:59], -v[62:63]
	;; [unrolled: 1-line block ×8, first 2 shown]
	v_add_f64 v[56:57], v[68:69], v[56:57]
	v_fma_f64 v[68:69], v[70:71], -0.5, v[48:49]
	v_add_f64 v[70:71], v[76:77], v[78:79]
	v_fma_f64 v[48:49], v[80:81], -0.5, v[48:49]
	;; [unrolled: 2-line block ×3, first 2 shown]
	v_fma_f64 v[50:51], v[97:98], -0.5, v[50:51]
	v_add_f64 v[95:96], v[66:67], -v[62:63]
	v_add_f64 v[76:77], v[82:83], v[85:86]
	v_add_f64 v[82:83], v[54:55], v[99:100]
	;; [unrolled: 1-line block ×3, first 2 shown]
	v_fma_f64 v[56:57], v[72:73], s[10:11], v[68:69]
	v_fma_f64 v[60:61], v[72:73], s[14:15], v[68:69]
	;; [unrolled: 1-line block ×4, first 2 shown]
	v_add_f64 v[58:59], v[58:59], v[62:63]
	v_fma_f64 v[62:63], v[52:53], s[14:15], v[78:79]
	v_fma_f64 v[78:79], v[52:53], s[10:11], v[78:79]
	;; [unrolled: 1-line block ×4, first 2 shown]
	v_add_f64 v[80:81], v[93:94], v[95:96]
	v_add_f64 v[48:49], v[54:55], v[64:65]
	v_fma_f64 v[54:55], v[74:75], s[4:5], v[56:57]
	v_fma_f64 v[56:57], v[74:75], s[16:17], v[60:61]
	;; [unrolled: 1-line block ×4, first 2 shown]
	v_add_f64 v[50:51], v[58:59], v[66:67]
	v_fma_f64 v[58:59], v[91:92], s[16:17], v[62:63]
	v_fma_f64 v[62:63], v[52:53], s[16:17], v[87:88]
	;; [unrolled: 1-line block ×12, first 2 shown]
	ds_write_b128 v129, v[48:51]
	ds_write_b128 v129, v[52:55] offset:208
	ds_write_b128 v129, v[56:59] offset:416
	;; [unrolled: 1-line block ×4, first 2 shown]
	s_waitcnt lgkmcnt(0)
	s_barrier
	s_and_saveexec_b64 s[4:5], vcc
	s_cbranch_execz .LBB0_9
; %bb.8:
	global_load_dwordx4 v[68:71], v207, s[12:13] offset:1040
	s_add_u32 s8, s12, 0x410
	s_addc_u32 s9, s13, 0
	global_load_dwordx4 v[72:75], v207, s[8:9] offset:80
	global_load_dwordx4 v[76:79], v207, s[8:9] offset:160
	;; [unrolled: 1-line block ×12, first 2 shown]
	ds_read_b128 v[121:124], v129
	ds_read_b128 v[125:128], v129 offset:80
	ds_read_b128 v[131:134], v129 offset:160
	;; [unrolled: 1-line block ×12, first 2 shown]
	s_waitcnt vmcnt(11) lgkmcnt(11)
	v_mul_f64 v[177:178], v[127:128], v[74:75]
	v_mul_f64 v[74:75], v[125:126], v[74:75]
	s_waitcnt vmcnt(10) lgkmcnt(10)
	v_mul_f64 v[179:180], v[133:134], v[78:79]
	v_mul_f64 v[78:79], v[131:132], v[78:79]
	;; [unrolled: 3-line block ×4, first 2 shown]
	v_mul_f64 v[175:176], v[123:124], v[70:71]
	v_mul_f64 v[70:71], v[121:122], v[70:71]
	s_waitcnt vmcnt(7) lgkmcnt(7)
	v_mul_f64 v[185:186], v[145:146], v[91:92]
	v_mul_f64 v[91:92], v[143:144], v[91:92]
	s_waitcnt vmcnt(6) lgkmcnt(6)
	;; [unrolled: 3-line block ×8, first 2 shown]
	v_mul_f64 v[199:200], v[173:174], v[119:120]
	v_mul_f64 v[201:202], v[171:172], v[119:120]
	v_fma_f64 v[119:120], v[121:122], v[68:69], -v[175:176]
	v_fma_f64 v[121:122], v[123:124], v[68:69], v[70:71]
	v_fma_f64 v[68:69], v[125:126], v[72:73], -v[177:178]
	v_fma_f64 v[70:71], v[127:128], v[72:73], v[74:75]
	;; [unrolled: 2-line block ×13, first 2 shown]
	ds_write_b128 v129, v[119:122]
	ds_write_b128 v129, v[68:71] offset:80
	ds_write_b128 v129, v[72:75] offset:160
	;; [unrolled: 1-line block ×12, first 2 shown]
.LBB0_9:
	s_or_b64 exec, exec, s[4:5]
	s_waitcnt lgkmcnt(0)
	s_barrier
	s_and_saveexec_b64 s[4:5], vcc
	s_cbranch_execz .LBB0_11
; %bb.10:
	ds_read_b128 v[48:51], v129
	ds_read_b128 v[52:55], v129 offset:80
	ds_read_b128 v[56:59], v129 offset:160
	;; [unrolled: 1-line block ×12, first 2 shown]
.LBB0_11:
	s_or_b64 exec, exec, s[4:5]
	s_waitcnt lgkmcnt(0)
	s_barrier
	s_and_saveexec_b64 s[4:5], vcc
	s_cbranch_execz .LBB0_13
; %bb.12:
	v_add_f64 v[127:128], v[52:53], -v[0:1]
	s_mov_b32 s18, 0x4bc48dbf
	s_mov_b32 s19, 0xbfcea1e5
	v_add_f64 v[125:126], v[56:57], -v[4:5]
	v_add_f64 v[95:96], v[54:55], v[2:3]
	s_mov_b32 s16, 0x93053d00
	s_mov_b32 s21, 0x3fddbe06
	;; [unrolled: 1-line block ×3, first 2 shown]
	v_mul_f64 v[76:77], v[127:128], s[18:19]
	s_mov_b32 s17, 0xbfef11f4
	v_add_f64 v[99:100], v[60:61], -v[8:9]
	v_mul_f64 v[78:79], v[125:126], s[20:21]
	v_add_f64 v[91:92], v[58:59], v[6:7]
	v_add_f64 v[107:108], v[54:55], -v[2:3]
	s_mov_b32 s22, 0xe00740e9
	s_mov_b32 s23, 0x3fec55a7
	v_fma_f64 v[97:98], v[95:96], s[16:17], v[76:77]
	v_add_f64 v[89:90], v[64:65], -v[12:13]
	v_mul_f64 v[111:112], v[99:100], s[26:27]
	v_add_f64 v[93:94], v[62:63], v[10:11]
	v_fma_f64 v[101:102], v[91:92], s[22:23], v[78:79]
	v_add_f64 v[105:106], v[58:59], -v[6:7]
	v_add_f64 v[103:104], v[52:53], v[0:1]
	v_mul_f64 v[117:118], v[107:108], s[18:19]
	v_add_f64 v[109:110], v[50:51], v[97:98]
	s_mov_b32 s38, 0x42a4c3d2
	s_mov_b32 s24, 0xd0032e0c
	;; [unrolled: 1-line block ×4, first 2 shown]
	v_mul_f64 v[74:75], v[89:90], s[38:39]
	v_add_f64 v[97:98], v[66:67], v[14:15]
	v_fma_f64 v[113:114], v[93:94], s[24:25], v[111:112]
	v_add_f64 v[115:116], v[101:102], v[109:110]
	v_add_f64 v[109:110], v[62:63], -v[10:11]
	v_add_f64 v[101:102], v[56:57], v[4:5]
	v_mul_f64 v[131:132], v[105:106], s[20:21]
	v_fma_f64 v[121:122], v[103:104], s[16:17], -v[117:118]
	v_fma_f64 v[76:77], v[95:96], s[16:17], -v[76:77]
	s_mov_b32 s28, 0x1ea71119
	s_mov_b32 s29, 0x3fe22d96
	v_add_f64 v[87:88], v[16:17], -v[24:25]
	v_fma_f64 v[123:124], v[97:98], s[28:29], v[74:75]
	v_add_f64 v[113:114], v[113:114], v[115:116]
	v_add_f64 v[119:120], v[66:67], -v[14:15]
	v_add_f64 v[115:116], v[60:61], v[8:9]
	v_mul_f64 v[133:134], v[109:110], s[26:27]
	v_fma_f64 v[135:136], v[101:102], s[22:23], -v[131:132]
	v_add_f64 v[137:138], v[48:49], v[121:122]
	v_fma_f64 v[78:79], v[91:92], s[22:23], -v[78:79]
	v_add_f64 v[76:77], v[50:51], v[76:77]
	s_mov_b32 s14, 0x2ef20147
	s_mov_b32 s15, 0xbfedeba7
	v_add_f64 v[85:86], v[20:21], -v[28:29]
	v_add_f64 v[82:83], v[18:19], v[26:27]
	v_mul_f64 v[68:69], v[87:88], s[14:15]
	v_add_f64 v[139:140], v[123:124], v[113:114]
	v_add_f64 v[121:122], v[18:19], -v[26:27]
	v_add_f64 v[113:114], v[64:65], v[12:13]
	v_mul_f64 v[141:142], v[119:120], s[38:39]
	v_fma_f64 v[143:144], v[115:116], s[24:25], -v[133:134]
	v_add_f64 v[135:136], v[135:136], v[137:138]
	v_fma_f64 v[137:138], v[93:94], s[24:25], -v[111:112]
	v_add_f64 v[76:77], v[78:79], v[76:77]
	v_fma_f64 v[147:148], v[103:104], s[16:17], v[117:118]
	s_mov_b32 s30, 0x66966769
	s_mov_b32 s10, 0xb2365da1
	s_mov_b32 s31, 0x3fefc445
	s_mov_b32 s11, 0xbfd6b1d8
	v_add_f64 v[80:81], v[22:23], v[30:31]
	v_mul_f64 v[70:71], v[85:86], s[30:31]
	v_fma_f64 v[72:73], v[82:83], s[10:11], v[68:69]
	v_add_f64 v[123:124], v[22:23], -v[30:31]
	v_add_f64 v[111:112], v[16:17], v[24:25]
	v_mul_f64 v[78:79], v[121:122], s[14:15]
	v_fma_f64 v[145:146], v[113:114], s[28:29], -v[141:142]
	v_add_f64 v[135:136], v[143:144], v[135:136]
	v_fma_f64 v[74:75], v[97:98], s[28:29], -v[74:75]
	v_add_f64 v[76:77], v[137:138], v[76:77]
	v_fma_f64 v[131:132], v[101:102], s[22:23], v[131:132]
	v_add_f64 v[147:148], v[48:49], v[147:148]
	s_mov_b32 s8, 0xebaa3ed8
	s_mov_b32 s9, 0x3fbedb7d
	v_add_f64 v[117:118], v[20:21], v[28:29]
	v_mul_f64 v[137:138], v[123:124], s[30:31]
	v_fma_f64 v[143:144], v[111:112], s[10:11], -v[78:79]
	v_add_f64 v[135:136], v[145:146], v[135:136]
	v_add_f64 v[74:75], v[74:75], v[76:77]
	v_fma_f64 v[76:77], v[80:81], s[8:9], v[70:71]
	v_add_f64 v[72:73], v[72:73], v[139:140]
	v_fma_f64 v[133:134], v[115:116], s[24:25], v[133:134]
	v_add_f64 v[131:132], v[131:132], v[147:148]
	v_mul_f64 v[145:146], v[127:128], s[26:27]
	v_fma_f64 v[68:69], v[82:83], s[10:11], -v[68:69]
	v_fma_f64 v[139:140], v[117:118], s[8:9], -v[137:138]
	v_add_f64 v[135:136], v[143:144], v[135:136]
	v_fma_f64 v[143:144], v[80:81], s[8:9], -v[70:71]
	v_add_f64 v[70:71], v[76:77], v[72:73]
	v_mul_f64 v[76:77], v[125:126], s[30:31]
	v_add_f64 v[131:132], v[133:134], v[131:132]
	v_fma_f64 v[133:134], v[95:96], s[24:25], v[145:146]
	v_fma_f64 v[145:146], v[95:96], s[24:25], -v[145:146]
	s_mov_b32 s35, 0xbfea55e2
	s_mov_b32 s34, s38
	v_add_f64 v[74:75], v[68:69], v[74:75]
	v_fma_f64 v[141:142], v[113:114], s[28:29], v[141:142]
	v_add_f64 v[68:69], v[139:140], v[135:136]
	v_fma_f64 v[72:73], v[117:118], s[8:9], v[137:138]
	v_mul_f64 v[135:136], v[107:108], s[26:27]
	v_mul_f64 v[137:138], v[99:100], s[34:35]
	v_fma_f64 v[139:140], v[91:92], s[8:9], v[76:77]
	v_add_f64 v[133:134], v[50:51], v[133:134]
	v_fma_f64 v[76:77], v[91:92], s[8:9], -v[76:77]
	v_add_f64 v[145:146], v[50:51], v[145:146]
	s_mov_b32 s43, 0x3fcea1e5
	s_mov_b32 s42, s18
	v_add_f64 v[74:75], v[143:144], v[74:75]
	v_add_f64 v[131:132], v[141:142], v[131:132]
	v_mul_f64 v[141:142], v[105:106], s[30:31]
	v_fma_f64 v[143:144], v[103:104], s[24:25], -v[135:136]
	v_mul_f64 v[147:148], v[89:90], s[42:43]
	v_fma_f64 v[149:150], v[93:94], s[28:29], v[137:138]
	v_add_f64 v[133:134], v[139:140], v[133:134]
	v_fma_f64 v[137:138], v[93:94], s[28:29], -v[137:138]
	v_add_f64 v[76:77], v[76:77], v[145:146]
	v_mul_f64 v[139:140], v[87:88], s[20:21]
	v_mul_f64 v[151:152], v[109:110], s[34:35]
	v_fma_f64 v[153:154], v[101:102], s[8:9], -v[141:142]
	v_add_f64 v[143:144], v[48:49], v[143:144]
	v_fma_f64 v[155:156], v[97:98], s[16:17], v[147:148]
	v_add_f64 v[133:134], v[149:150], v[133:134]
	v_fma_f64 v[147:148], v[97:98], s[16:17], -v[147:148]
	v_add_f64 v[76:77], v[137:138], v[76:77]
	v_fma_f64 v[135:136], v[103:104], s[24:25], v[135:136]
	v_fma_f64 v[78:79], v[111:112], s[10:11], v[78:79]
	v_mul_f64 v[149:150], v[85:86], s[14:15]
	v_mul_f64 v[157:158], v[119:120], s[42:43]
	v_fma_f64 v[159:160], v[115:116], s[28:29], -v[151:152]
	v_add_f64 v[143:144], v[153:154], v[143:144]
	v_fma_f64 v[153:154], v[82:83], s[22:23], v[139:140]
	v_add_f64 v[133:134], v[155:156], v[133:134]
	v_fma_f64 v[139:140], v[82:83], s[22:23], -v[139:140]
	v_add_f64 v[76:77], v[147:148], v[76:77]
	v_fma_f64 v[141:142], v[101:102], s[8:9], v[141:142]
	v_add_f64 v[135:136], v[48:49], v[135:136]
	v_add_f64 v[78:79], v[78:79], v[131:132]
	v_mul_f64 v[131:132], v[121:122], s[20:21]
	v_fma_f64 v[145:146], v[113:114], s[16:17], -v[157:158]
	v_add_f64 v[143:144], v[159:160], v[143:144]
	v_fma_f64 v[155:156], v[80:81], s[10:11], v[149:150]
	v_add_f64 v[133:134], v[153:154], v[133:134]
	v_mul_f64 v[147:148], v[127:128], s[14:15]
	v_add_f64 v[139:140], v[139:140], v[76:77]
	v_fma_f64 v[76:77], v[115:116], s[28:29], v[151:152]
	v_add_f64 v[135:136], v[141:142], v[135:136]
	v_mul_f64 v[141:142], v[107:108], s[14:15]
	s_mov_b32 s41, 0x3fe5384d
	s_mov_b32 s40, s26
	v_fma_f64 v[153:154], v[111:112], s[22:23], -v[131:132]
	v_add_f64 v[143:144], v[145:146], v[143:144]
	v_add_f64 v[72:73], v[72:73], v[78:79]
	v_add_f64 v[78:79], v[155:156], v[133:134]
	v_fma_f64 v[145:146], v[80:81], s[10:11], -v[149:150]
	v_mul_f64 v[149:150], v[125:126], s[40:41]
	v_fma_f64 v[151:152], v[95:96], s[10:11], v[147:148]
	v_add_f64 v[76:77], v[76:77], v[135:136]
	v_mul_f64 v[155:156], v[105:106], s[40:41]
	v_fma_f64 v[135:136], v[103:104], s[10:11], -v[141:142]
	v_fma_f64 v[147:148], v[95:96], s[10:11], -v[147:148]
	v_add_f64 v[143:144], v[153:154], v[143:144]
	v_fma_f64 v[153:154], v[113:114], s[16:17], v[157:158]
	v_mul_f64 v[157:158], v[99:100], s[20:21]
	v_fma_f64 v[159:160], v[91:92], s[24:25], v[149:150]
	v_add_f64 v[151:152], v[50:51], v[151:152]
	v_mul_f64 v[161:162], v[109:110], s[20:21]
	v_fma_f64 v[163:164], v[101:102], s[24:25], -v[155:156]
	v_add_f64 v[135:136], v[48:49], v[135:136]
	v_fma_f64 v[149:150], v[91:92], s[24:25], -v[149:150]
	v_add_f64 v[147:148], v[50:51], v[147:148]
	s_mov_b32 s37, 0xbfefc445
	s_mov_b32 s36, s30
	v_mul_f64 v[137:138], v[123:124], s[14:15]
	v_mul_f64 v[165:166], v[89:90], s[36:37]
	v_fma_f64 v[167:168], v[93:94], s[22:23], v[157:158]
	v_add_f64 v[151:152], v[159:160], v[151:152]
	v_add_f64 v[76:77], v[153:154], v[76:77]
	v_mul_f64 v[153:154], v[119:120], s[36:37]
	v_fma_f64 v[159:160], v[115:116], s[22:23], -v[161:162]
	v_add_f64 v[135:136], v[163:164], v[135:136]
	v_fma_f64 v[157:158], v[93:94], s[22:23], -v[157:158]
	v_add_f64 v[147:148], v[149:150], v[147:148]
	v_fma_f64 v[133:134], v[117:118], s[10:11], -v[137:138]
	v_fma_f64 v[131:132], v[111:112], s[22:23], v[131:132]
	v_mul_f64 v[163:164], v[87:88], s[42:43]
	v_fma_f64 v[169:170], v[97:98], s[8:9], v[165:166]
	v_add_f64 v[151:152], v[167:168], v[151:152]
	v_mul_f64 v[167:168], v[121:122], s[42:43]
	v_fma_f64 v[171:172], v[113:114], s[8:9], -v[153:154]
	v_add_f64 v[135:136], v[159:160], v[135:136]
	v_fma_f64 v[165:166], v[97:98], s[8:9], -v[165:166]
	v_add_f64 v[147:148], v[157:158], v[147:148]
	v_mul_f64 v[159:160], v[85:86], s[38:39]
	v_fma_f64 v[173:174], v[82:83], s[16:17], v[163:164]
	v_add_f64 v[151:152], v[169:170], v[151:152]
	v_mul_f64 v[149:150], v[123:124], s[38:39]
	v_fma_f64 v[169:170], v[111:112], s[16:17], -v[167:168]
	v_add_f64 v[135:136], v[171:172], v[135:136]
	v_add_f64 v[131:132], v[131:132], v[76:77]
	;; [unrolled: 1-line block ×4, first 2 shown]
	v_fma_f64 v[139:140], v[103:104], s[10:11], v[141:142]
	v_fma_f64 v[141:142], v[82:83], s[16:17], -v[163:164]
	v_add_f64 v[143:144], v[165:166], v[147:148]
	v_fma_f64 v[137:138], v[117:118], s[10:11], v[137:138]
	v_fma_f64 v[171:172], v[80:81], s[28:29], v[159:160]
	v_add_f64 v[151:152], v[173:174], v[151:152]
	v_fma_f64 v[157:158], v[117:118], s[28:29], -v[149:150]
	v_add_f64 v[135:136], v[169:170], v[135:136]
	v_fma_f64 v[145:146], v[101:102], s[24:25], v[155:156]
	v_mul_f64 v[147:148], v[127:128], s[36:37]
	v_add_f64 v[139:140], v[48:49], v[139:140]
	v_add_f64 v[141:142], v[141:142], v[143:144]
	v_fma_f64 v[143:144], v[113:114], s[8:9], v[153:154]
	v_mul_f64 v[153:154], v[107:108], s[36:37]
	v_add_f64 v[131:132], v[137:138], v[131:132]
	v_add_f64 v[137:138], v[171:172], v[151:152]
	;; [unrolled: 1-line block ×3, first 2 shown]
	v_fma_f64 v[151:152], v[80:81], s[28:29], -v[159:160]
	v_fma_f64 v[155:156], v[115:116], s[22:23], v[161:162]
	v_mul_f64 v[157:158], v[125:126], s[18:19]
	v_fma_f64 v[159:160], v[95:96], s[8:9], v[147:148]
	v_add_f64 v[139:140], v[145:146], v[139:140]
	v_mul_f64 v[161:162], v[105:106], s[18:19]
	v_fma_f64 v[145:146], v[103:104], s[8:9], -v[153:154]
	s_mov_b32 s39, 0x3fedeba7
	s_mov_b32 s38, s14
	v_mul_f64 v[163:164], v[99:100], s[38:39]
	v_fma_f64 v[165:166], v[91:92], s[16:17], v[157:158]
	v_add_f64 v[159:160], v[50:51], v[159:160]
	v_add_f64 v[139:140], v[155:156], v[139:140]
	v_fma_f64 v[155:156], v[111:112], s[16:17], v[167:168]
	v_mul_f64 v[167:168], v[109:110], s[38:39]
	v_fma_f64 v[169:170], v[101:102], s[16:17], -v[161:162]
	v_add_f64 v[145:146], v[48:49], v[145:146]
	v_mul_f64 v[171:172], v[89:90], s[20:21]
	v_fma_f64 v[173:174], v[93:94], s[10:11], v[163:164]
	v_add_f64 v[159:160], v[165:166], v[159:160]
	v_add_f64 v[139:140], v[143:144], v[139:140]
	v_mul_f64 v[165:166], v[119:120], s[20:21]
	v_fma_f64 v[143:144], v[115:116], s[10:11], -v[167:168]
	v_fma_f64 v[147:148], v[95:96], s[8:9], -v[147:148]
	v_add_f64 v[145:146], v[169:170], v[145:146]
	v_mul_f64 v[169:170], v[87:88], s[34:35]
	v_fma_f64 v[175:176], v[97:98], s[22:23], v[171:172]
	v_add_f64 v[159:160], v[173:174], v[159:160]
	v_mul_f64 v[173:174], v[121:122], s[34:35]
	v_fma_f64 v[177:178], v[113:114], s[22:23], -v[165:166]
	v_fma_f64 v[157:158], v[91:92], s[16:17], -v[157:158]
	v_add_f64 v[147:148], v[50:51], v[147:148]
	v_add_f64 v[143:144], v[143:144], v[145:146]
	v_mul_f64 v[179:180], v[85:86], s[26:27]
	v_fma_f64 v[145:146], v[82:83], s[28:29], v[169:170]
	v_add_f64 v[159:160], v[175:176], v[159:160]
	v_mul_f64 v[175:176], v[123:124], s[26:27]
	v_fma_f64 v[181:182], v[111:112], s[28:29], -v[173:174]
	v_fma_f64 v[163:164], v[93:94], s[10:11], -v[163:164]
	v_add_f64 v[147:148], v[157:158], v[147:148]
	v_add_f64 v[143:144], v[177:178], v[143:144]
	v_fma_f64 v[149:150], v[117:118], s[28:29], v[149:150]
	v_add_f64 v[139:140], v[155:156], v[139:140]
	v_fma_f64 v[155:156], v[80:81], s[24:25], v[179:180]
	v_add_f64 v[145:146], v[145:146], v[159:160]
	v_fma_f64 v[157:158], v[117:118], s[24:25], -v[175:176]
	v_fma_f64 v[159:160], v[97:98], s[22:23], -v[171:172]
	v_add_f64 v[147:148], v[163:164], v[147:148]
	v_add_f64 v[143:144], v[181:182], v[143:144]
	;; [unrolled: 1-line block ×4, first 2 shown]
	v_fma_f64 v[149:150], v[103:104], s[8:9], v[153:154]
	v_mul_f64 v[153:154], v[127:128], s[34:35]
	v_add_f64 v[145:146], v[155:156], v[145:146]
	v_fma_f64 v[151:152], v[82:83], s[28:29], -v[169:170]
	v_add_f64 v[147:148], v[159:160], v[147:148]
	v_add_f64 v[143:144], v[157:158], v[143:144]
	v_fma_f64 v[155:156], v[101:102], s[16:17], v[161:162]
	v_mul_f64 v[157:158], v[107:108], s[34:35]
	v_add_f64 v[149:150], v[48:49], v[149:150]
	v_mul_f64 v[161:162], v[125:126], s[14:15]
	v_fma_f64 v[163:164], v[95:96], s[28:29], v[153:154]
	v_add_f64 v[54:55], v[54:55], v[50:51]
	v_add_f64 v[147:148], v[151:152], v[147:148]
	v_fma_f64 v[151:152], v[115:116], s[10:11], v[167:168]
	v_mul_f64 v[167:168], v[105:106], s[14:15]
	v_fma_f64 v[169:170], v[103:104], s[28:29], -v[157:158]
	v_add_f64 v[149:150], v[155:156], v[149:150]
	v_mul_f64 v[155:156], v[99:100], s[18:19]
	v_fma_f64 v[171:172], v[91:92], s[10:11], v[161:162]
	v_add_f64 v[163:164], v[50:51], v[163:164]
	v_add_f64 v[52:53], v[52:53], v[48:49]
	v_fma_f64 v[159:160], v[80:81], s[24:25], -v[179:180]
	v_mul_f64 v[177:178], v[109:110], s[18:19]
	v_fma_f64 v[179:180], v[101:102], s[10:11], -v[167:168]
	v_add_f64 v[169:170], v[48:49], v[169:170]
	v_add_f64 v[149:150], v[151:152], v[149:150]
	v_mul_f64 v[151:152], v[89:90], s[40:41]
	v_fma_f64 v[181:182], v[93:94], s[16:17], v[155:156]
	v_add_f64 v[163:164], v[171:172], v[163:164]
	v_add_f64 v[54:55], v[58:59], v[54:55]
	;; [unrolled: 1-line block ×3, first 2 shown]
	v_fma_f64 v[183:184], v[115:116], s[16:17], -v[177:178]
	v_add_f64 v[169:170], v[179:180], v[169:170]
	v_fma_f64 v[153:154], v[95:96], s[28:29], -v[153:154]
	v_fma_f64 v[179:180], v[97:98], s[24:25], v[151:152]
	v_fma_f64 v[161:162], v[91:92], s[10:11], -v[161:162]
	v_add_f64 v[163:164], v[181:182], v[163:164]
	v_add_f64 v[54:55], v[62:63], v[54:55]
	;; [unrolled: 1-line block ×3, first 2 shown]
	v_fma_f64 v[157:158], v[103:104], s[28:29], v[157:158]
	v_add_f64 v[169:170], v[183:184], v[169:170]
	v_mul_f64 v[183:184], v[85:86], s[20:21]
	v_add_f64 v[153:154], v[50:51], v[153:154]
	v_fma_f64 v[155:156], v[93:94], s[16:17], -v[155:156]
	v_add_f64 v[163:164], v[179:180], v[163:164]
	v_mul_f64 v[179:180], v[123:124], s[20:21]
	s_mov_b32 s21, 0xbfddbe06
	v_add_f64 v[54:55], v[66:67], v[54:55]
	v_add_f64 v[64:65], v[64:65], v[52:53]
	v_mul_f64 v[127:128], v[127:128], s[20:21]
	v_add_f64 v[153:154], v[161:162], v[153:154]
	v_fma_f64 v[161:162], v[101:102], s[10:11], v[167:168]
	v_add_f64 v[157:158], v[48:49], v[157:158]
	v_mul_f64 v[125:126], v[125:126], s[34:35]
	v_fma_f64 v[171:172], v[111:112], s[28:29], v[173:174]
	v_add_f64 v[18:19], v[18:19], v[54:55]
	v_add_f64 v[16:17], v[16:17], v[64:65]
	v_fma_f64 v[167:168], v[95:96], s[22:23], v[127:128]
	v_mul_f64 v[54:55], v[107:108], s[20:21]
	v_mul_f64 v[173:174], v[119:120], s[40:41]
	v_fma_f64 v[151:152], v[97:98], s[24:25], -v[151:152]
	v_add_f64 v[153:154], v[155:156], v[153:154]
	v_fma_f64 v[155:156], v[115:116], s[16:17], v[177:178]
	v_add_f64 v[18:19], v[18:19], v[22:23]
	v_add_f64 v[16:17], v[20:21], v[16:17]
	;; [unrolled: 1-line block ×3, first 2 shown]
	v_mul_f64 v[99:100], v[99:100], s[36:37]
	v_fma_f64 v[161:162], v[91:92], s[28:29], v[125:126]
	v_add_f64 v[167:168], v[50:51], v[167:168]
	v_fma_f64 v[95:96], v[95:96], s[22:23], -v[127:128]
	v_mul_f64 v[105:106], v[105:106], s[34:35]
	v_fma_f64 v[20:21], v[103:104], s[22:23], v[54:55]
	v_fma_f64 v[54:55], v[103:104], s[22:23], -v[54:55]
	v_add_f64 v[18:19], v[18:19], v[30:31]
	v_add_f64 v[16:17], v[28:29], v[16:17]
	v_fma_f64 v[165:166], v[113:114], s[22:23], v[165:166]
	v_mul_f64 v[181:182], v[121:122], s[30:31]
	v_add_f64 v[56:57], v[151:152], v[153:154]
	v_fma_f64 v[58:59], v[113:114], s[24:25], v[173:174]
	v_add_f64 v[151:152], v[155:156], v[157:158]
	v_mul_f64 v[89:90], v[89:90], s[14:15]
	v_fma_f64 v[153:154], v[93:94], s[8:9], v[99:100]
	v_add_f64 v[155:156], v[161:162], v[167:168]
	v_mul_f64 v[22:23], v[109:110], s[36:37]
	v_fma_f64 v[91:92], v[91:92], s[28:29], -v[125:126]
	v_add_f64 v[50:51], v[50:51], v[95:96]
	v_fma_f64 v[95:96], v[101:102], s[28:29], v[105:106]
	v_add_f64 v[20:21], v[48:49], v[20:21]
	v_fma_f64 v[28:29], v[101:102], s[28:29], -v[105:106]
	v_add_f64 v[30:31], v[48:49], v[54:55]
	v_add_f64 v[18:19], v[18:19], v[26:27]
	;; [unrolled: 1-line block ×4, first 2 shown]
	v_mul_f64 v[165:166], v[87:88], s[30:31]
	v_fma_f64 v[60:61], v[111:112], s[8:9], v[181:182]
	v_add_f64 v[58:59], v[58:59], v[151:152]
	v_mul_f64 v[62:63], v[87:88], s[26:27]
	v_fma_f64 v[87:88], v[97:98], s[10:11], v[89:90]
	v_add_f64 v[151:152], v[153:154], v[155:156]
	v_mul_f64 v[107:108], v[119:120], s[14:15]
	v_fma_f64 v[48:49], v[93:94], s[8:9], -v[99:100]
	v_add_f64 v[50:51], v[91:92], v[50:51]
	v_fma_f64 v[54:55], v[115:116], s[8:9], v[22:23]
	v_add_f64 v[20:21], v[95:96], v[20:21]
	v_fma_f64 v[22:23], v[115:116], s[8:9], -v[22:23]
	v_add_f64 v[24:25], v[28:29], v[30:31]
	v_add_f64 v[14:15], v[18:19], v[14:15]
	;; [unrolled: 1-line block ×4, first 2 shown]
	v_mul_f64 v[60:61], v[85:86], s[18:19]
	v_add_f64 v[85:86], v[87:88], v[151:152]
	v_mul_f64 v[87:88], v[121:122], s[26:27]
	v_fma_f64 v[26:27], v[97:98], s[10:11], -v[89:90]
	v_add_f64 v[28:29], v[48:49], v[50:51]
	v_fma_f64 v[30:31], v[113:114], s[10:11], v[107:108]
	v_add_f64 v[16:17], v[54:55], v[20:21]
	v_fma_f64 v[175:176], v[117:118], s[24:25], v[175:176]
	v_add_f64 v[171:172], v[171:172], v[149:150]
	v_fma_f64 v[187:188], v[82:83], s[8:9], v[165:166]
	v_fma_f64 v[165:166], v[82:83], s[8:9], -v[165:166]
	v_fma_f64 v[185:186], v[113:114], s[24:25], -v[173:174]
	;; [unrolled: 1-line block ×3, first 2 shown]
	v_add_f64 v[20:21], v[22:23], v[24:25]
	v_add_f64 v[10:11], v[14:15], v[10:11]
	;; [unrolled: 1-line block ×3, first 2 shown]
	v_mul_f64 v[64:65], v[123:124], s[18:19]
	v_fma_f64 v[22:23], v[82:83], s[24:25], -v[62:63]
	v_add_f64 v[24:25], v[26:27], v[28:29]
	v_fma_f64 v[26:27], v[111:112], s[24:25], v[87:88]
	v_add_f64 v[12:13], v[30:31], v[16:17]
	v_add_f64 v[149:150], v[159:160], v[147:148]
	v_add_f64 v[147:148], v[175:176], v[171:172]
	v_fma_f64 v[175:176], v[80:81], s[22:23], -v[183:184]
	v_add_f64 v[56:57], v[165:166], v[56:57]
	v_fma_f64 v[189:190], v[111:112], s[8:9], -v[181:182]
	v_add_f64 v[169:170], v[185:186], v[169:170]
	v_fma_f64 v[66:67], v[82:83], s[24:25], v[62:63]
	v_fma_f64 v[14:15], v[111:112], s[24:25], -v[87:88]
	v_add_f64 v[16:17], v[18:19], v[20:21]
	v_add_f64 v[6:7], v[10:11], v[6:7]
	;; [unrolled: 1-line block ×3, first 2 shown]
	v_fma_f64 v[18:19], v[80:81], s[16:17], -v[60:61]
	v_add_f64 v[20:21], v[22:23], v[24:25]
	v_fma_f64 v[22:23], v[117:118], s[16:17], v[64:65]
	v_add_f64 v[12:13], v[26:27], v[12:13]
	v_add_f64 v[52:53], v[175:176], v[56:57]
	v_fma_f64 v[56:57], v[117:118], s[22:23], v[179:180]
	v_fma_f64 v[159:160], v[80:81], s[22:23], v[183:184]
	v_add_f64 v[163:164], v[187:188], v[163:164]
	v_fma_f64 v[171:172], v[117:118], s[22:23], -v[179:180]
	v_add_f64 v[169:170], v[189:190], v[169:170]
	v_fma_f64 v[24:25], v[80:81], s[16:17], v[60:61]
	v_add_f64 v[26:27], v[66:67], v[85:86]
	v_fma_f64 v[28:29], v[117:118], s[16:17], -v[64:65]
	v_add_f64 v[14:15], v[14:15], v[16:17]
	v_add_f64 v[8:9], v[6:7], v[2:3]
	;; [unrolled: 1-line block ×6, first 2 shown]
	v_lshl_add_u32 v0, v210, 4, v209
	v_add_f64 v[12:13], v[159:160], v[163:164]
	v_add_f64 v[10:11], v[171:172], v[169:170]
	;; [unrolled: 1-line block ×4, first 2 shown]
	ds_write_b128 v0, v[6:9]
	ds_write_b128 v0, v[2:5] offset:16
	ds_write_b128 v0, v[50:53] offset:32
	;; [unrolled: 1-line block ×12, first 2 shown]
.LBB0_13:
	s_or_b64 exec, exec, s[4:5]
	s_waitcnt lgkmcnt(0)
	s_barrier
	ds_read_b128 v[0:3], v130 offset:416
	ds_read_b128 v[4:7], v130 offset:624
	;; [unrolled: 1-line block ×4, first 2 shown]
	s_mov_b32 s4, 0x134454ff
	s_waitcnt lgkmcnt(3)
	v_mul_f64 v[16:17], v[42:43], v[2:3]
	s_waitcnt lgkmcnt(2)
	v_mul_f64 v[18:19], v[38:39], v[6:7]
	;; [unrolled: 2-line block ×3, first 2 shown]
	v_mul_f64 v[22:23], v[46:47], v[8:9]
	s_mov_b32 s5, 0xbfee6f0e
	s_mov_b32 s8, 0x4755a5e
	s_mov_b32 s9, 0xbfe2cf23
	s_mov_b32 s10, 0x372fe950
	v_fma_f64 v[26:27], v[40:41], v[0:1], v[16:17]
	v_fma_f64 v[28:29], v[36:37], v[4:5], v[18:19]
	ds_read_b128 v[16:19], v130
	s_waitcnt lgkmcnt(1)
	v_mul_f64 v[24:25], v[34:35], v[12:13]
	v_mul_f64 v[0:1], v[42:43], v[0:1]
	v_mul_f64 v[4:5], v[38:39], v[4:5]
	v_mul_f64 v[30:31], v[34:35], v[14:15]
	v_fma_f64 v[8:9], v[44:45], v[8:9], v[20:21]
	v_fma_f64 v[10:11], v[44:45], v[10:11], -v[22:23]
	v_add_f64 v[20:21], v[26:27], v[28:29]
	s_mov_b32 s15, 0x3fee6f0e
	v_fma_f64 v[14:15], v[32:33], v[14:15], -v[24:25]
	v_fma_f64 v[2:3], v[40:41], v[2:3], -v[0:1]
	;; [unrolled: 1-line block ×3, first 2 shown]
	v_fma_f64 v[12:13], v[32:33], v[12:13], v[30:31]
	s_waitcnt lgkmcnt(0)
	v_add_f64 v[0:1], v[16:17], v[8:9]
	v_add_f64 v[24:25], v[8:9], -v[26:27]
	v_fma_f64 v[4:5], v[20:21], -0.5, v[16:17]
	s_mov_b32 s14, s4
	v_add_f64 v[22:23], v[10:11], -v[14:15]
	s_mov_b32 s11, 0x3fd3c6ef
	v_add_f64 v[20:21], v[2:3], -v[6:7]
	v_add_f64 v[30:31], v[12:13], -v[28:29]
	v_add_f64 v[32:33], v[8:9], v[12:13]
	v_add_f64 v[0:1], v[0:1], v[26:27]
	;; [unrolled: 1-line block ×3, first 2 shown]
	v_add_f64 v[40:41], v[28:29], -v[12:13]
	v_fma_f64 v[34:35], v[22:23], s[4:5], v[4:5]
	v_fma_f64 v[36:37], v[22:23], s[14:15], v[4:5]
	s_mov_b32 s17, 0x3fe2cf23
	v_add_f64 v[24:25], v[24:25], v[30:31]
	v_fma_f64 v[16:17], v[32:33], -0.5, v[16:17]
	v_add_f64 v[32:33], v[2:3], v[6:7]
	v_add_f64 v[0:1], v[0:1], v[28:29]
	s_mov_b32 s16, s8
	v_fma_f64 v[30:31], v[20:21], s[8:9], v[34:35]
	v_add_f64 v[34:35], v[10:11], v[14:15]
	v_fma_f64 v[38:39], v[20:21], s[14:15], v[16:17]
	v_fma_f64 v[32:33], v[32:33], -0.5, v[18:19]
	v_add_f64 v[0:1], v[0:1], v[12:13]
	v_fma_f64 v[16:17], v[20:21], s[4:5], v[16:17]
	v_fma_f64 v[4:5], v[24:25], s[10:11], v[30:31]
	v_add_f64 v[30:31], v[26:27], -v[8:9]
	v_add_f64 v[8:9], v[8:9], -v[12:13]
	;; [unrolled: 1-line block ×3, first 2 shown]
	v_fma_f64 v[18:19], v[34:35], -0.5, v[18:19]
	v_fma_f64 v[12:13], v[20:21], s[16:17], v[36:37]
	v_add_f64 v[20:21], v[42:43], v[2:3]
	v_fma_f64 v[28:29], v[22:23], s[8:9], v[38:39]
	v_add_f64 v[36:37], v[10:11], -v[2:3]
	v_add_f64 v[38:39], v[14:15], -v[6:7]
	v_fma_f64 v[34:35], v[8:9], s[14:15], v[32:33]
	v_add_f64 v[30:31], v[30:31], v[40:41]
	v_fma_f64 v[40:41], v[26:27], s[4:5], v[18:19]
	v_add_f64 v[2:3], v[2:3], -v[10:11]
	v_add_f64 v[10:11], v[6:7], -v[14:15]
	v_fma_f64 v[18:19], v[26:27], s[14:15], v[18:19]
	v_fma_f64 v[32:33], v[8:9], s[4:5], v[32:33]
	v_add_f64 v[6:7], v[20:21], v[6:7]
	v_fma_f64 v[16:17], v[22:23], s[16:17], v[16:17]
	v_fma_f64 v[20:21], v[26:27], s[16:17], v[34:35]
	v_add_f64 v[22:23], v[36:37], v[38:39]
	v_fma_f64 v[34:35], v[8:9], s[16:17], v[40:41]
	v_add_f64 v[10:11], v[2:3], v[10:11]
	v_fma_f64 v[18:19], v[8:9], s[8:9], v[18:19]
	v_fma_f64 v[26:27], v[26:27], s[8:9], v[32:33]
	v_add_f64 v[2:3], v[6:7], v[14:15]
	v_fma_f64 v[8:9], v[24:25], s[10:11], v[12:13]
	v_fma_f64 v[12:13], v[30:31], s[10:11], v[28:29]
	;; [unrolled: 1-line block ×7, first 2 shown]
	ds_write_b128 v129, v[0:3]
	ds_write_b128 v129, v[4:7] offset:208
	ds_write_b128 v129, v[12:15] offset:416
	;; [unrolled: 1-line block ×4, first 2 shown]
	s_waitcnt lgkmcnt(0)
	s_barrier
	s_and_b64 exec, exec, vcc
	s_cbranch_execz .LBB0_15
; %bb.14:
	global_load_dwordx4 v[0:3], v207, s[12:13]
	global_load_dwordx4 v[4:7], v207, s[12:13] offset:80
	global_load_dwordx4 v[8:11], v207, s[12:13] offset:160
	;; [unrolled: 1-line block ×12, first 2 shown]
	v_mad_u64_u32 v[85:86], s[4:5], s2, v84, 0
	v_mad_u64_u32 v[87:88], s[8:9], s0, v206, 0
	v_mov_b32_e32 v92, s7
	s_mul_i32 s7, s1, 0x50
	s_mul_hi_u32 s8, s0, 0x50
	s_add_i32 s10, s8, s7
	v_mad_u64_u32 v[89:90], s[8:9], s3, v84, v[86:87]
	v_lshl_add_u32 v104, v208, 4, v207
	ds_read_b128 v[52:55], v129
	ds_read_b128 v[56:59], v104 offset:80
	v_mad_u64_u32 v[90:91], s[8:9], s1, v206, v[88:89]
	v_mov_b32_e32 v86, v89
	v_lshlrev_b64 v[84:85], 4, v[85:86]
	v_mov_b32_e32 v88, v90
	v_lshlrev_b64 v[86:87], 4, v[87:88]
	v_add_co_u32_e32 v106, vcc, s6, v84
	v_addc_co_u32_e32 v107, vcc, v92, v85, vcc
	v_add_co_u32_e32 v84, vcc, v106, v86
	s_mul_i32 s2, s0, 0x50
	v_addc_co_u32_e32 v85, vcc, v107, v87, vcc
	v_mov_b32_e32 v93, s10
	v_add_co_u32_e32 v86, vcc, s2, v84
	v_addc_co_u32_e32 v87, vcc, v85, v93, vcc
	v_mov_b32_e32 v94, s10
	v_add_co_u32_e32 v88, vcc, s2, v86
	v_addc_co_u32_e32 v89, vcc, v87, v94, vcc
	ds_read_b128 v[60:63], v104 offset:160
	ds_read_b128 v[64:67], v104 offset:240
	;; [unrolled: 1-line block ×6, first 2 shown]
	s_mov_b32 s4, 0x1f81f820
	s_mov_b32 s5, 0x3f8f81f8
	v_mov_b32_e32 v91, s10
	v_add_co_u32_e32 v90, vcc, s2, v88
	v_addc_co_u32_e32 v91, vcc, v89, v91, vcc
	v_mov_b32_e32 v105, s10
	s_waitcnt vmcnt(12) lgkmcnt(7)
	v_mul_f64 v[92:93], v[54:55], v[2:3]
	v_mul_f64 v[2:3], v[52:53], v[2:3]
	s_waitcnt vmcnt(11) lgkmcnt(6)
	v_mul_f64 v[94:95], v[58:59], v[6:7]
	v_mul_f64 v[6:7], v[56:57], v[6:7]
	;; [unrolled: 3-line block ×4, first 2 shown]
	v_fma_f64 v[52:53], v[52:53], v[0:1], v[92:93]
	v_fma_f64 v[2:3], v[0:1], v[54:55], -v[2:3]
	v_fma_f64 v[54:55], v[56:57], v[4:5], v[94:95]
	v_fma_f64 v[6:7], v[4:5], v[58:59], -v[6:7]
	v_fma_f64 v[56:57], v[60:61], v[8:9], v[96:97]
	v_fma_f64 v[10:11], v[8:9], v[62:63], -v[10:11]
	v_fma_f64 v[58:59], v[64:65], v[12:13], v[98:99]
	v_fma_f64 v[14:15], v[12:13], v[66:67], -v[14:15]
	s_waitcnt vmcnt(8) lgkmcnt(3)
	v_mul_f64 v[100:101], v[70:71], v[18:19]
	v_mul_f64 v[18:19], v[68:69], v[18:19]
	s_waitcnt vmcnt(7) lgkmcnt(2)
	v_mul_f64 v[102:103], v[74:75], v[22:23]
	v_mul_f64 v[22:23], v[72:73], v[22:23]
	;; [unrolled: 1-line block ×10, first 2 shown]
	v_fma_f64 v[60:61], v[68:69], v[16:17], v[100:101]
	v_fma_f64 v[18:19], v[16:17], v[70:71], -v[18:19]
	v_fma_f64 v[52:53], v[72:73], v[20:21], v[102:103]
	v_fma_f64 v[20:21], v[20:21], v[74:75], -v[22:23]
	global_store_dwordx4 v[84:85], v[0:3], off
	global_store_dwordx4 v[86:87], v[4:7], off
	;; [unrolled: 1-line block ×4, first 2 shown]
	s_waitcnt vmcnt(10) lgkmcnt(1)
	v_mul_f64 v[4:5], v[78:79], v[26:27]
	v_mul_f64 v[6:7], v[76:77], v[26:27]
	v_add_co_u32_e32 v8, vcc, s2, v90
	v_mul_f64 v[16:17], v[60:61], s[4:5]
	v_mul_f64 v[18:19], v[18:19], s[4:5]
	;; [unrolled: 1-line block ×4, first 2 shown]
	v_fma_f64 v[4:5], v[76:77], v[24:25], v[4:5]
	v_fma_f64 v[6:7], v[24:25], v[78:79], -v[6:7]
	v_addc_co_u32_e32 v9, vcc, v91, v105, vcc
	v_mov_b32_e32 v14, s10
	global_store_dwordx4 v[8:9], v[16:19], off
	s_waitcnt vmcnt(10) lgkmcnt(0)
	v_mul_f64 v[12:13], v[80:81], v[30:31]
	v_add_co_u32_e32 v8, vcc, s2, v8
	v_addc_co_u32_e32 v9, vcc, v9, v14, vcc
	global_store_dwordx4 v[8:9], v[0:3], off
	v_mul_f64 v[10:11], v[82:83], v[30:31]
	v_mul_f64 v[0:1], v[4:5], s[4:5]
	;; [unrolled: 1-line block ×3, first 2 shown]
	v_fma_f64 v[6:7], v[28:29], v[82:83], -v[12:13]
	v_add_co_u32_e32 v12, vcc, s2, v8
	v_addc_co_u32_e32 v13, vcc, v9, v14, vcc
	v_fma_f64 v[4:5], v[80:81], v[28:29], v[10:11]
	ds_read_b128 v[8:11], v104 offset:720
	global_store_dwordx4 v[12:13], v[0:3], off
	ds_read_b128 v[0:3], v104 offset:640
	v_mad_u64_u32 v[18:19], s[6:7], s0, v205, 0
	v_mul_f64 v[6:7], v[6:7], s[4:5]
	v_mov_b32_e32 v20, s10
	s_waitcnt vmcnt(11) lgkmcnt(0)
	v_mul_f64 v[14:15], v[2:3], v[34:35]
	v_mul_f64 v[16:17], v[0:1], v[34:35]
	;; [unrolled: 1-line block ×3, first 2 shown]
	v_add_co_u32_e32 v12, vcc, s2, v12
	v_addc_co_u32_e32 v13, vcc, v13, v20, vcc
	s_waitcnt vmcnt(10)
	v_mul_f64 v[20:21], v[8:9], v[38:39]
	v_fma_f64 v[0:1], v[0:1], v[32:33], v[14:15]
	v_fma_f64 v[2:3], v[32:33], v[2:3], -v[16:17]
	v_mul_f64 v[15:16], v[10:11], v[38:39]
	v_mov_b32_e32 v14, v19
	global_store_dwordx4 v[12:13], v[4:7], off
	ds_read_b128 v[4:7], v104 offset:800
	v_mov_b32_e32 v26, s10
	v_fma_f64 v[10:11], v[36:37], v[10:11], -v[20:21]
	v_mul_f64 v[0:1], v[0:1], s[4:5]
	v_mul_f64 v[2:3], v[2:3], s[4:5]
	v_mad_u64_u32 v[22:23], s[6:7], s1, v205, v[14:15]
	v_fma_f64 v[8:9], v[8:9], v[36:37], v[15:16]
	v_mov_b32_e32 v19, v22
	v_lshlrev_b64 v[17:18], 4, v[18:19]
	v_mul_f64 v[10:11], v[10:11], s[4:5]
	v_add_co_u32_e32 v14, vcc, v106, v17
	v_addc_co_u32_e32 v15, vcc, v107, v18, vcc
	global_store_dwordx4 v[14:15], v[0:3], off
	ds_read_b128 v[0:3], v104 offset:880
	s_waitcnt vmcnt(11) lgkmcnt(1)
	v_mul_f64 v[14:15], v[6:7], v[42:43]
	v_mul_f64 v[16:17], v[4:5], v[42:43]
	v_mov_b32_e32 v18, 0xa0
	v_mad_u64_u32 v[18:19], s[6:7], s0, v18, v[12:13]
	s_waitcnt vmcnt(10) lgkmcnt(0)
	v_mul_f64 v[20:21], v[0:1], v[46:47]
	v_mul_f64 v[8:9], v[8:9], s[4:5]
	s_mul_i32 s0, s1, 0xa0
	v_fma_f64 v[4:5], v[4:5], v[40:41], v[14:15]
	ds_read_b128 v[12:15], v104 offset:960
	v_fma_f64 v[6:7], v[40:41], v[6:7], -v[16:17]
	v_mul_f64 v[16:17], v[2:3], v[46:47]
	v_add_u32_e32 v19, s0, v19
	v_fma_f64 v[2:3], v[44:45], v[2:3], -v[20:21]
	s_waitcnt vmcnt(9) lgkmcnt(0)
	v_mul_f64 v[22:23], v[14:15], v[50:51]
	v_mul_f64 v[24:25], v[12:13], v[50:51]
	global_store_dwordx4 v[18:19], v[8:11], off
	v_mul_f64 v[4:5], v[4:5], s[4:5]
	v_mul_f64 v[6:7], v[6:7], s[4:5]
	v_fma_f64 v[0:1], v[0:1], v[44:45], v[16:17]
	v_mul_f64 v[2:3], v[2:3], s[4:5]
	v_fma_f64 v[8:9], v[12:13], v[48:49], v[22:23]
	v_fma_f64 v[10:11], v[48:49], v[14:15], -v[24:25]
	v_add_co_u32_e32 v12, vcc, s2, v18
	v_addc_co_u32_e32 v13, vcc, v19, v26, vcc
	v_mul_f64 v[0:1], v[0:1], s[4:5]
	global_store_dwordx4 v[12:13], v[4:7], off
	v_mov_b32_e32 v14, s10
	v_mul_f64 v[4:5], v[8:9], s[4:5]
	v_mul_f64 v[6:7], v[10:11], s[4:5]
	v_add_co_u32_e32 v8, vcc, s2, v12
	v_addc_co_u32_e32 v9, vcc, v13, v14, vcc
	global_store_dwordx4 v[8:9], v[0:3], off
	s_nop 0
	v_mov_b32_e32 v1, s10
	v_add_co_u32_e32 v0, vcc, s2, v8
	v_addc_co_u32_e32 v1, vcc, v9, v1, vcc
	global_store_dwordx4 v[0:1], v[4:7], off
.LBB0_15:
	s_endpgm
	.section	.rodata,"a",@progbits
	.p2align	6, 0x0
	.amdhsa_kernel bluestein_single_back_len65_dim1_dp_op_CI_CI
		.amdhsa_group_segment_fixed_size 19760
		.amdhsa_private_segment_fixed_size 0
		.amdhsa_kernarg_size 104
		.amdhsa_user_sgpr_count 6
		.amdhsa_user_sgpr_private_segment_buffer 1
		.amdhsa_user_sgpr_dispatch_ptr 0
		.amdhsa_user_sgpr_queue_ptr 0
		.amdhsa_user_sgpr_kernarg_segment_ptr 1
		.amdhsa_user_sgpr_dispatch_id 0
		.amdhsa_user_sgpr_flat_scratch_init 0
		.amdhsa_user_sgpr_private_segment_size 0
		.amdhsa_uses_dynamic_stack 0
		.amdhsa_system_sgpr_private_segment_wavefront_offset 0
		.amdhsa_system_sgpr_workgroup_id_x 1
		.amdhsa_system_sgpr_workgroup_id_y 0
		.amdhsa_system_sgpr_workgroup_id_z 0
		.amdhsa_system_sgpr_workgroup_info 0
		.amdhsa_system_vgpr_workitem_id 0
		.amdhsa_next_free_vgpr 250
		.amdhsa_next_free_sgpr 44
		.amdhsa_reserve_vcc 1
		.amdhsa_reserve_flat_scratch 0
		.amdhsa_float_round_mode_32 0
		.amdhsa_float_round_mode_16_64 0
		.amdhsa_float_denorm_mode_32 3
		.amdhsa_float_denorm_mode_16_64 3
		.amdhsa_dx10_clamp 1
		.amdhsa_ieee_mode 1
		.amdhsa_fp16_overflow 0
		.amdhsa_exception_fp_ieee_invalid_op 0
		.amdhsa_exception_fp_denorm_src 0
		.amdhsa_exception_fp_ieee_div_zero 0
		.amdhsa_exception_fp_ieee_overflow 0
		.amdhsa_exception_fp_ieee_underflow 0
		.amdhsa_exception_fp_ieee_inexact 0
		.amdhsa_exception_int_div_zero 0
	.end_amdhsa_kernel
	.text
.Lfunc_end0:
	.size	bluestein_single_back_len65_dim1_dp_op_CI_CI, .Lfunc_end0-bluestein_single_back_len65_dim1_dp_op_CI_CI
                                        ; -- End function
	.section	.AMDGPU.csdata,"",@progbits
; Kernel info:
; codeLenInByte = 13024
; NumSgprs: 48
; NumVgprs: 250
; ScratchSize: 0
; MemoryBound: 0
; FloatMode: 240
; IeeeMode: 1
; LDSByteSize: 19760 bytes/workgroup (compile time only)
; SGPRBlocks: 5
; VGPRBlocks: 62
; NumSGPRsForWavesPerEU: 48
; NumVGPRsForWavesPerEU: 250
; Occupancy: 1
; WaveLimiterHint : 1
; COMPUTE_PGM_RSRC2:SCRATCH_EN: 0
; COMPUTE_PGM_RSRC2:USER_SGPR: 6
; COMPUTE_PGM_RSRC2:TRAP_HANDLER: 0
; COMPUTE_PGM_RSRC2:TGID_X_EN: 1
; COMPUTE_PGM_RSRC2:TGID_Y_EN: 0
; COMPUTE_PGM_RSRC2:TGID_Z_EN: 0
; COMPUTE_PGM_RSRC2:TIDIG_COMP_CNT: 0
	.type	__hip_cuid_afdf3fa1b2a5ceb9,@object ; @__hip_cuid_afdf3fa1b2a5ceb9
	.section	.bss,"aw",@nobits
	.globl	__hip_cuid_afdf3fa1b2a5ceb9
__hip_cuid_afdf3fa1b2a5ceb9:
	.byte	0                               ; 0x0
	.size	__hip_cuid_afdf3fa1b2a5ceb9, 1

	.ident	"AMD clang version 19.0.0git (https://github.com/RadeonOpenCompute/llvm-project roc-6.4.0 25133 c7fe45cf4b819c5991fe208aaa96edf142730f1d)"
	.section	".note.GNU-stack","",@progbits
	.addrsig
	.addrsig_sym __hip_cuid_afdf3fa1b2a5ceb9
	.amdgpu_metadata
---
amdhsa.kernels:
  - .args:
      - .actual_access:  read_only
        .address_space:  global
        .offset:         0
        .size:           8
        .value_kind:     global_buffer
      - .actual_access:  read_only
        .address_space:  global
        .offset:         8
        .size:           8
        .value_kind:     global_buffer
      - .actual_access:  read_only
        .address_space:  global
        .offset:         16
        .size:           8
        .value_kind:     global_buffer
      - .actual_access:  read_only
        .address_space:  global
        .offset:         24
        .size:           8
        .value_kind:     global_buffer
      - .actual_access:  read_only
        .address_space:  global
        .offset:         32
        .size:           8
        .value_kind:     global_buffer
      - .offset:         40
        .size:           8
        .value_kind:     by_value
      - .address_space:  global
        .offset:         48
        .size:           8
        .value_kind:     global_buffer
      - .address_space:  global
        .offset:         56
        .size:           8
        .value_kind:     global_buffer
      - .address_space:  global
        .offset:         64
        .size:           8
        .value_kind:     global_buffer
      - .address_space:  global
        .offset:         72
        .size:           8
        .value_kind:     global_buffer
      - .offset:         80
        .size:           4
        .value_kind:     by_value
      - .address_space:  global
        .offset:         88
        .size:           8
        .value_kind:     global_buffer
      - .address_space:  global
        .offset:         96
        .size:           8
        .value_kind:     global_buffer
    .group_segment_fixed_size: 19760
    .kernarg_segment_align: 8
    .kernarg_segment_size: 104
    .language:       OpenCL C
    .language_version:
      - 2
      - 0
    .max_flat_workgroup_size: 247
    .name:           bluestein_single_back_len65_dim1_dp_op_CI_CI
    .private_segment_fixed_size: 0
    .sgpr_count:     48
    .sgpr_spill_count: 0
    .symbol:         bluestein_single_back_len65_dim1_dp_op_CI_CI.kd
    .uniform_work_group_size: 1
    .uses_dynamic_stack: false
    .vgpr_count:     250
    .vgpr_spill_count: 0
    .wavefront_size: 64
amdhsa.target:   amdgcn-amd-amdhsa--gfx906
amdhsa.version:
  - 1
  - 2
...

	.end_amdgpu_metadata
